;; amdgpu-corpus repo=ROCm/rocFFT kind=compiled arch=gfx1201 opt=O3
	.text
	.amdgcn_target "amdgcn-amd-amdhsa--gfx1201"
	.amdhsa_code_object_version 6
	.protected	bluestein_single_fwd_len1040_dim1_sp_op_CI_CI ; -- Begin function bluestein_single_fwd_len1040_dim1_sp_op_CI_CI
	.globl	bluestein_single_fwd_len1040_dim1_sp_op_CI_CI
	.p2align	8
	.type	bluestein_single_fwd_len1040_dim1_sp_op_CI_CI,@function
bluestein_single_fwd_len1040_dim1_sp_op_CI_CI: ; @bluestein_single_fwd_len1040_dim1_sp_op_CI_CI
; %bb.0:
	s_load_b128 s[8:11], s[0:1], 0x28
	v_mul_u32_u24_e32 v1, 0x13c, v0
	s_mov_b32 s2, exec_lo
	v_mov_b32_e32 v71, 0
	s_delay_alu instid0(VALU_DEP_2) | instskip(NEXT) | instid1(VALU_DEP_1)
	v_lshrrev_b32_e32 v1, 16, v1
	v_add_nc_u32_e32 v70, ttmp9, v1
	s_wait_kmcnt 0x0
	s_delay_alu instid0(VALU_DEP_1)
	v_cmpx_gt_u64_e64 s[8:9], v[70:71]
	s_cbranch_execz .LBB0_23
; %bb.1:
	v_mul_lo_u16 v1, 0xd0, v1
	s_clause 0x1
	s_load_b64 s[12:13], s[0:1], 0x0
	s_load_b64 s[8:9], s[0:1], 0x38
	s_delay_alu instid0(VALU_DEP_1) | instskip(NEXT) | instid1(VALU_DEP_1)
	v_sub_nc_u16 v0, v0, v1
	v_and_b32_e32 v75, 0xffff, v0
	v_cmp_gt_u16_e32 vcc_lo, 0x50, v0
	s_delay_alu instid0(VALU_DEP_2)
	v_lshlrev_b32_e32 v74, 3, v75
	v_or_b32_e32 v73, 0x280, v75
	s_and_saveexec_b32 s3, vcc_lo
	s_cbranch_execz .LBB0_3
; %bb.2:
	s_load_b64 s[4:5], s[0:1], 0x18
	v_add_nc_u32_e32 v56, 0xc00, v74
	s_wait_kmcnt 0x0
	s_load_b128 s[4:7], s[4:5], 0x0
	s_clause 0x1
	global_load_b64 v[11:12], v74, s[12:13]
	global_load_b64 v[13:14], v74, s[12:13] offset:640
	s_wait_kmcnt 0x0
	v_mad_co_u64_u32 v[0:1], null, s6, v70, 0
	v_mad_co_u64_u32 v[2:3], null, s4, v75, 0
	s_delay_alu instid0(VALU_DEP_1) | instskip(SKIP_1) | instid1(VALU_DEP_1)
	v_mad_co_u64_u32 v[4:5], null, s7, v70, v[1:2]
	s_mul_u64 s[6:7], s[4:5], 0x280
	v_mad_co_u64_u32 v[5:6], null, s5, v75, v[3:4]
	v_mov_b32_e32 v1, v4
	s_delay_alu instid0(VALU_DEP_1) | instskip(NEXT) | instid1(VALU_DEP_3)
	v_lshlrev_b64_e32 v[0:1], 3, v[0:1]
	v_mov_b32_e32 v3, v5
	s_delay_alu instid0(VALU_DEP_1) | instskip(NEXT) | instid1(VALU_DEP_3)
	v_lshlrev_b64_e32 v[2:3], 3, v[2:3]
	v_add_co_u32 v21, s2, s10, v0
	s_delay_alu instid0(VALU_DEP_1) | instskip(SKIP_1) | instid1(VALU_DEP_3)
	v_add_co_ci_u32_e64 v22, s2, s11, v1, s2
	v_mad_co_u64_u32 v[0:1], null, s4, v73, 0
	v_add_co_u32 v2, s2, v21, v2
	s_wait_alu 0xf1ff
	s_delay_alu instid0(VALU_DEP_3) | instskip(SKIP_1) | instid1(VALU_DEP_2)
	v_add_co_ci_u32_e64 v3, s2, v22, v3, s2
	s_wait_alu 0xfffe
	v_add_co_u32 v4, s2, v2, s6
	s_wait_alu 0xf1ff
	s_delay_alu instid0(VALU_DEP_2) | instskip(SKIP_1) | instid1(VALU_DEP_3)
	v_add_co_ci_u32_e64 v5, s2, s7, v3, s2
	v_mad_co_u64_u32 v[8:9], null, s5, v73, v[1:2]
	v_add_co_u32 v6, s2, v4, s6
	s_wait_alu 0xf1ff
	s_delay_alu instid0(VALU_DEP_3) | instskip(NEXT) | instid1(VALU_DEP_2)
	v_add_co_ci_u32_e64 v7, s2, s7, v5, s2
	v_add_co_u32 v9, s2, v6, s6
	s_wait_alu 0xf1ff
	s_delay_alu instid0(VALU_DEP_2) | instskip(SKIP_1) | instid1(VALU_DEP_3)
	v_add_co_ci_u32_e64 v10, s2, s7, v7, s2
	v_mov_b32_e32 v1, v8
	v_add_co_u32 v15, s2, v9, s6
	s_wait_alu 0xf1ff
	s_delay_alu instid0(VALU_DEP_3) | instskip(NEXT) | instid1(VALU_DEP_3)
	v_add_co_ci_u32_e64 v16, s2, s7, v10, s2
	v_lshlrev_b64_e32 v[0:1], 3, v[0:1]
	s_delay_alu instid0(VALU_DEP_3) | instskip(SKIP_1) | instid1(VALU_DEP_3)
	v_add_co_u32 v17, s2, v15, s6
	s_wait_alu 0xf1ff
	v_add_co_ci_u32_e64 v18, s2, s7, v16, s2
	s_delay_alu instid0(VALU_DEP_2) | instskip(SKIP_1) | instid1(VALU_DEP_2)
	v_add_co_u32 v19, s2, v17, s6
	s_wait_alu 0xf1ff
	v_add_co_ci_u32_e64 v20, s2, s7, v18, s2
	v_add_co_u32 v0, s2, v21, v0
	s_wait_alu 0xf1ff
	v_add_co_ci_u32_e64 v1, s2, v22, v1, s2
	;; [unrolled: 3-line block ×3, first 2 shown]
	global_load_b64 v[2:3], v[2:3], off
	global_load_b64 v[23:24], v74, s[12:13] offset:5120
	s_clause 0x2
	global_load_b64 v[0:1], v[0:1], off
	global_load_b64 v[4:5], v[4:5], off
	global_load_b64 v[6:7], v[6:7], off
	s_clause 0x1
	global_load_b64 v[27:28], v74, s[12:13] offset:1280
	global_load_b64 v[29:30], v74, s[12:13] offset:1920
	s_clause 0x1
	global_load_b64 v[8:9], v[9:10], off
	global_load_b64 v[15:16], v[15:16], off
	v_mad_co_u64_u32 v[25:26], null, 0x500, s4, v[21:22]
	v_add_nc_u32_e32 v58, 0x1800, v74
	s_delay_alu instid0(VALU_DEP_2) | instskip(NEXT) | instid1(VALU_DEP_3)
	v_dual_mov_b32 v10, v26 :: v_dual_add_nc_u32 v57, 0x1000, v74
	v_add_co_u32 v44, s2, v25, s6
	s_wait_loadcnt 0xa
	s_delay_alu instid0(VALU_DEP_2)
	v_mad_co_u64_u32 v[31:32], null, 0x500, s5, v[10:11]
	s_clause 0x5
	global_load_b64 v[32:33], v74, s[12:13] offset:2560
	global_load_b64 v[34:35], v74, s[12:13] offset:3200
	;; [unrolled: 1-line block ×6, first 2 shown]
	global_load_b64 v[17:18], v[17:18], off
	global_load_b64 v[19:20], v[19:20], off
	;; [unrolled: 1-line block ×3, first 2 shown]
	v_dual_mov_b32 v26, v31 :: v_dual_add_nc_u32 v31, 0x800, v74
	s_wait_alu 0xf1ff
	s_delay_alu instid0(VALU_DEP_1)
	v_add_co_ci_u32_e64 v45, s2, s7, v26, s2
	v_add_co_u32 v46, s2, v44, s6
	global_load_b64 v[25:26], v[25:26], off
	s_wait_alu 0xf1ff
	v_add_co_ci_u32_e64 v47, s2, s7, v45, s2
	global_load_b64 v[44:45], v[44:45], off
	v_add_co_u32 v48, s2, v46, s6
	s_wait_alu 0xf1ff
	v_add_co_ci_u32_e64 v49, s2, s7, v47, s2
	global_load_b64 v[50:51], v74, s[12:13] offset:7040
	global_load_b64 v[46:47], v[46:47], off
	global_load_b64 v[52:53], v74, s[12:13] offset:7680
	global_load_b64 v[48:49], v[48:49], off
	s_wait_loadcnt 0x17
	v_mul_f32_e32 v10, v3, v12
	v_mul_f32_e32 v55, v2, v12
	s_wait_loadcnt 0x15
	v_mul_f32_e32 v12, v1, v24
	s_wait_loadcnt 0x14
	v_mul_f32_e32 v54, v5, v14
	v_mul_f32_e32 v24, v0, v24
	v_fmac_f32_e32 v10, v2, v11
	v_fma_f32 v11, v3, v11, -v55
	v_mul_f32_e32 v3, v4, v14
	v_fmac_f32_e32 v12, v0, v23
	v_fmac_f32_e32 v54, v4, v13
	s_wait_loadcnt 0x12
	v_mul_f32_e32 v0, v6, v28
	v_mul_f32_e32 v2, v7, v28
	v_fma_f32 v55, v5, v13, -v3
	s_wait_loadcnt 0x10
	v_mul_f32_e32 v4, v9, v30
	v_mul_f32_e32 v14, v8, v30
	v_fma_f32 v13, v1, v23, -v24
	ds_store_2addr_b64 v74, v[10:11], v[54:55] offset1:80
	v_fma_f32 v5, v9, v29, -v14
	s_wait_loadcnt 0xe
	v_mul_f32_e32 v1, v15, v33
	s_delay_alu instid0(VALU_DEP_1)
	v_fma_f32 v1, v16, v32, -v1
	s_wait_loadcnt 0x5
	v_mul_f32_e32 v9, v25, v41
	s_wait_loadcnt 0x4
	v_mul_f32_e32 v11, v44, v43
	v_fma_f32 v3, v7, v27, -v0
	v_dual_mul_f32 v0, v16, v33 :: v_dual_mul_f32 v7, v21, v39
	v_fmac_f32_e32 v2, v6, v27
	v_mul_f32_e32 v6, v22, v39
	v_mul_f32_e32 v10, v45, v43
	s_wait_loadcnt 0x2
	v_dual_fmac_f32 v0, v15, v32 :: v_dual_mul_f32 v15, v46, v51
	v_fmac_f32_e32 v4, v8, v29
	v_mul_f32_e32 v8, v26, v41
	v_mul_f32_e32 v14, v47, v51
	s_wait_loadcnt 0x0
	v_mul_f32_e32 v16, v49, v53
	v_fmac_f32_e32 v6, v21, v38
	ds_store_2addr_b64 v74, v[2:3], v[4:5] offset0:160 offset1:240
	v_mul_f32_e32 v2, v18, v35
	v_dual_mul_f32 v3, v17, v35 :: v_dual_mul_f32 v4, v20, v37
	v_mul_f32_e32 v5, v19, v37
	v_fma_f32 v7, v22, v38, -v7
	s_delay_alu instid0(VALU_DEP_4) | instskip(NEXT) | instid1(VALU_DEP_4)
	v_dual_fmac_f32 v2, v17, v34 :: v_dual_mul_f32 v17, v48, v53
	v_fma_f32 v3, v18, v34, -v3
	v_fmac_f32_e32 v4, v19, v36
	v_fma_f32 v5, v20, v36, -v5
	v_fmac_f32_e32 v8, v25, v40
	;; [unrolled: 2-line block ×5, first 2 shown]
	v_fma_f32 v17, v49, v52, -v17
	ds_store_2addr_b64 v31, v[0:1], v[2:3] offset0:64 offset1:144
	ds_store_2addr_b64 v56, v[4:5], v[6:7] offset0:96 offset1:176
	;; [unrolled: 1-line block ×4, first 2 shown]
	ds_store_b64 v74, v[16:17] offset:7680
.LBB0_3:
	s_or_b32 exec_lo, exec_lo, s3
	v_mov_b32_e32 v20, 0
	v_mov_b32_e32 v21, 0
	global_wb scope:SCOPE_SE
	s_wait_dscnt 0x0
	s_wait_kmcnt 0x0
	s_barrier_signal -1
	s_barrier_wait -1
	global_inv scope:SCOPE_SE
                                        ; implicit-def: $vgpr24
                                        ; implicit-def: $vgpr14
                                        ; implicit-def: $vgpr6
                                        ; implicit-def: $vgpr2
                                        ; implicit-def: $vgpr10
                                        ; implicit-def: $vgpr18
	s_and_saveexec_b32 s2, vcc_lo
	s_cbranch_execz .LBB0_5
; %bb.4:
	v_add_nc_u32_e32 v0, 0x800, v74
	v_add_nc_u32_e32 v1, 0xc00, v74
	;; [unrolled: 1-line block ×4, first 2 shown]
	ds_load_2addr_b64 v[20:23], v74 offset1:80
	ds_load_2addr_b64 v[16:19], v74 offset0:160 offset1:240
	ds_load_2addr_b64 v[8:11], v0 offset0:64 offset1:144
	ds_load_2addr_b64 v[0:3], v1 offset0:96 offset1:176
	ds_load_2addr_b64 v[4:7], v4 offset0:128 offset1:208
	ds_load_2addr_b64 v[12:15], v12 offset0:32 offset1:112
	ds_load_b64 v[24:25], v74 offset:7680
.LBB0_5:
	s_wait_alu 0xfffe
	s_or_b32 exec_lo, exec_lo, s2
	s_wait_dscnt 0x6
	v_dual_add_f32 v26, v22, v20 :: v_dual_add_f32 v27, v23, v21
	s_wait_dscnt 0x0
	v_dual_add_f32 v30, v24, v22 :: v_dual_sub_f32 v31, v23, v25
	v_dual_sub_f32 v22, v22, v24 :: v_dual_add_f32 v23, v25, v23
	s_delay_alu instid0(VALU_DEP_3) | instskip(NEXT) | instid1(VALU_DEP_2)
	v_dual_add_f32 v26, v16, v26 :: v_dual_add_f32 v27, v17, v27
	v_dual_mul_f32 v28, 0xbeedf032, v31 :: v_dual_mul_f32 v29, 0xbeedf032, v22
	v_dual_mul_f32 v32, 0xbf52af12, v31 :: v_dual_mul_f32 v33, 0xbf52af12, v22
	s_delay_alu instid0(VALU_DEP_3) | instskip(NEXT) | instid1(VALU_DEP_3)
	v_dual_add_f32 v26, v18, v26 :: v_dual_add_f32 v27, v19, v27
	v_fma_f32 v37, 0x3f62ad3f, v30, -v28
	v_dual_mul_f32 v34, 0xbf7e222b, v31 :: v_dual_mul_f32 v35, 0xbf7e222b, v22
	s_delay_alu instid0(VALU_DEP_3) | instskip(SKIP_1) | instid1(VALU_DEP_3)
	v_dual_add_f32 v26, v8, v26 :: v_dual_add_f32 v27, v9, v27
	v_fma_f32 v39, 0x3f116cb1, v30, -v32
	v_fma_f32 v41, 0x3df6dbef, v30, -v34
	v_dual_mul_f32 v36, 0xbf6f5d39, v31 :: v_dual_add_f32 v37, v37, v20
	s_delay_alu instid0(VALU_DEP_4)
	v_dual_add_f32 v26, v10, v26 :: v_dual_add_f32 v27, v11, v27
	v_fmamk_f32 v38, v23, 0x3f62ad3f, v29
	v_fma_f32 v29, 0x3f62ad3f, v23, -v29
	v_mul_lo_u16 v77, v75, 13
	global_wb scope:SCOPE_SE
	v_dual_add_f32 v27, v1, v27 :: v_dual_fmac_f32 v28, 0x3f62ad3f, v30
	v_add_f32_e32 v44, v29, v21
	s_barrier_signal -1
	s_barrier_wait -1
	s_delay_alu instid0(VALU_DEP_2) | instskip(SKIP_2) | instid1(VALU_DEP_3)
	v_dual_add_f32 v27, v3, v27 :: v_dual_add_f32 v26, v0, v26
	v_dual_fmamk_f32 v40, v23, 0x3f116cb1, v33 :: v_dual_add_f32 v43, v28, v20
	v_fma_f32 v33, 0x3f116cb1, v23, -v33
	v_dual_add_f32 v27, v5, v27 :: v_dual_add_f32 v26, v2, v26
	v_add_f32_e32 v39, v39, v20
	s_delay_alu instid0(VALU_DEP_3) | instskip(NEXT) | instid1(VALU_DEP_3)
	v_dual_fmamk_f32 v42, v23, 0x3df6dbef, v35 :: v_dual_add_f32 v33, v33, v21
	v_dual_add_f32 v27, v7, v27 :: v_dual_fmac_f32 v32, 0x3f116cb1, v30
	s_delay_alu instid0(VALU_DEP_4) | instskip(SKIP_2) | instid1(VALU_DEP_4)
	v_add_f32_e32 v26, v4, v26
	v_fma_f32 v35, 0x3df6dbef, v23, -v35
	v_add_f32_e32 v41, v41, v20
	v_dual_add_f32 v27, v13, v27 :: v_dual_fmac_f32 v34, 0x3df6dbef, v30
	s_delay_alu instid0(VALU_DEP_4) | instskip(SKIP_1) | instid1(VALU_DEP_3)
	v_add_f32_e32 v26, v6, v26
	v_dual_add_f32 v32, v32, v20 :: v_dual_mul_f32 v45, 0xbf29c268, v22
	v_dual_add_f32 v27, v15, v27 :: v_dual_add_f32 v38, v38, v21
	s_delay_alu instid0(VALU_DEP_3)
	v_dual_add_f32 v26, v12, v26 :: v_dual_sub_f32 v49, v17, v15
	global_inv scope:SCOPE_SE
	v_add_f32_e32 v29, v25, v27
	v_add_f32_e32 v27, v34, v20
	v_dual_mul_f32 v25, 0xbf6f5d39, v22 :: v_dual_add_f32 v40, v40, v21
	v_add_f32_e32 v34, v35, v21
	v_mul_f32_e32 v52, 0xbf52af12, v49
	v_fmamk_f32 v47, v23, 0xbf3f9e67, v45
	s_delay_alu instid0(VALU_DEP_4) | instskip(SKIP_1) | instid1(VALU_DEP_3)
	v_dual_fmamk_f32 v35, v23, 0xbeb58ec6, v25 :: v_dual_add_f32 v26, v14, v26
	v_fma_f32 v45, 0xbf3f9e67, v23, -v45
	v_dual_mul_f32 v22, 0xbe750f2a, v22 :: v_dual_add_f32 v47, v47, v21
	s_delay_alu instid0(VALU_DEP_3)
	v_dual_add_f32 v35, v35, v21 :: v_dual_add_f32 v28, v24, v26
	v_add_f32_e32 v26, v42, v21
	v_mul_f32_e32 v42, 0xbf29c268, v31
	v_fma_f32 v24, 0xbeb58ec6, v30, -v36
	v_dual_fmac_f32 v36, 0xbeb58ec6, v30 :: v_dual_add_f32 v45, v45, v21
	v_mul_f32_e32 v31, 0xbe750f2a, v31
	s_delay_alu instid0(VALU_DEP_4) | instskip(SKIP_1) | instid1(VALU_DEP_4)
	v_fma_f32 v46, 0xbf3f9e67, v30, -v42
	v_dual_fmac_f32 v42, 0xbf3f9e67, v30 :: v_dual_add_f32 v51, v14, v16
	v_add_f32_e32 v36, v36, v20
	s_delay_alu instid0(VALU_DEP_4) | instskip(NEXT) | instid1(VALU_DEP_4)
	v_fma_f32 v48, 0xbf788fa5, v30, -v31
	v_dual_fmac_f32 v31, 0xbf788fa5, v30 :: v_dual_add_f32 v46, v46, v20
	v_dual_add_f32 v15, v15, v17 :: v_dual_sub_f32 v14, v16, v14
	v_fma_f32 v17, 0x3f116cb1, v51, -v52
	v_mul_f32_e32 v30, 0xbf6f5d39, v49
	v_fma_f32 v25, 0xbeb58ec6, v23, -v25
	v_add_f32_e32 v42, v42, v20
	v_fmamk_f32 v50, v23, 0xbf788fa5, v22
	v_fma_f32 v16, 0xbf788fa5, v23, -v22
	v_dual_mul_f32 v22, 0xbf52af12, v14 :: v_dual_add_f32 v17, v17, v37
	v_fma_f32 v37, 0xbeb58ec6, v51, -v30
	v_dual_add_f32 v24, v24, v20 :: v_dual_add_f32 v25, v25, v21
	v_dual_add_f32 v48, v48, v20 :: v_dual_add_f32 v23, v50, v21
	v_dual_add_f32 v20, v31, v20 :: v_dual_mul_f32 v31, 0xbf6f5d39, v14
	v_dual_add_f32 v16, v16, v21 :: v_dual_fmamk_f32 v21, v15, 0x3f116cb1, v22
	v_add_f32_e32 v37, v37, v39
	s_delay_alu instid0(VALU_DEP_2) | instskip(NEXT) | instid1(VALU_DEP_1)
	v_dual_fmac_f32 v52, 0x3f116cb1, v51 :: v_dual_add_f32 v21, v21, v38
	v_dual_add_f32 v38, v52, v43 :: v_dual_fmamk_f32 v43, v15, 0xbeb58ec6, v31
	v_fma_f32 v31, 0xbeb58ec6, v15, -v31
	s_delay_alu instid0(VALU_DEP_2) | instskip(SKIP_2) | instid1(VALU_DEP_2)
	v_dual_mul_f32 v50, 0x3f29c268, v14 :: v_dual_add_f32 v39, v43, v40
	v_fma_f32 v22, 0x3f116cb1, v15, -v22
	v_mul_f32_e32 v43, 0xbe750f2a, v14
	v_dual_add_f32 v31, v31, v33 :: v_dual_add_f32 v22, v22, v44
	v_mul_f32_e32 v44, 0xbe750f2a, v49
	s_delay_alu instid0(VALU_DEP_1) | instskip(NEXT) | instid1(VALU_DEP_1)
	v_fma_f32 v40, 0xbf788fa5, v51, -v44
	v_dual_add_f32 v33, v40, v41 :: v_dual_fmamk_f32 v40, v15, 0xbf788fa5, v43
	v_fma_f32 v41, 0xbf788fa5, v15, -v43
	s_delay_alu instid0(VALU_DEP_1) | instskip(NEXT) | instid1(VALU_DEP_3)
	v_dual_add_f32 v34, v41, v34 :: v_dual_mul_f32 v41, 0x3f7e222b, v49
	v_add_f32_e32 v26, v40, v26
	v_fmamk_f32 v40, v15, 0xbf3f9e67, v50
	s_delay_alu instid0(VALU_DEP_1) | instskip(SKIP_3) | instid1(VALU_DEP_3)
	v_add_f32_e32 v35, v40, v35
	v_fmac_f32_e32 v44, 0xbf788fa5, v51
	v_fma_f32 v40, 0x3df6dbef, v51, -v41
	v_fmac_f32_e32 v41, 0x3df6dbef, v51
	v_add_f32_e32 v27, v44, v27
	v_fma_f32 v44, 0xbf3f9e67, v15, -v50
	s_delay_alu instid0(VALU_DEP_3) | instskip(SKIP_1) | instid1(VALU_DEP_2)
	v_dual_fmac_f32 v30, 0xbeb58ec6, v51 :: v_dual_add_f32 v41, v41, v42
	v_dual_sub_f32 v42, v19, v13 :: v_dual_add_f32 v13, v13, v19
	v_dual_add_f32 v25, v44, v25 :: v_dual_add_f32 v30, v30, v32
	v_mul_f32_e32 v32, 0x3f29c268, v49
	v_dual_mul_f32 v44, 0x3eedf032, v49 :: v_dual_add_f32 v49, v2, v0
	v_sub_f32_e32 v0, v0, v2
	s_delay_alu instid0(VALU_DEP_3) | instskip(SKIP_1) | instid1(VALU_DEP_2)
	v_fma_f32 v43, 0xbf3f9e67, v51, -v32
	v_fmac_f32_e32 v32, 0xbf3f9e67, v51
	v_dual_add_f32 v24, v43, v24 :: v_dual_mul_f32 v43, 0x3f7e222b, v14
	s_delay_alu instid0(VALU_DEP_2) | instskip(SKIP_1) | instid1(VALU_DEP_3)
	v_add_f32_e32 v32, v32, v36
	v_mul_f32_e32 v14, 0x3eedf032, v14
	v_fmamk_f32 v36, v15, 0x3df6dbef, v43
	v_fma_f32 v43, 0x3df6dbef, v15, -v43
	s_delay_alu instid0(VALU_DEP_2) | instskip(SKIP_3) | instid1(VALU_DEP_3)
	v_add_f32_e32 v36, v36, v47
	v_dual_add_f32 v47, v12, v18 :: v_dual_sub_f32 v12, v18, v12
	v_add_f32_e32 v40, v40, v46
	v_fma_f32 v46, 0x3f62ad3f, v51, -v44
	v_dual_add_f32 v43, v43, v45 :: v_dual_mul_f32 v18, 0xbf7e222b, v12
	s_delay_alu instid0(VALU_DEP_2) | instskip(SKIP_1) | instid1(VALU_DEP_2)
	v_dual_add_f32 v45, v46, v48 :: v_dual_fmamk_f32 v46, v15, 0x3f62ad3f, v14
	v_fma_f32 v14, 0x3f62ad3f, v15, -v14
	v_dual_mul_f32 v48, 0xbf7e222b, v42 :: v_dual_add_f32 v19, v46, v23
	s_delay_alu instid0(VALU_DEP_2) | instskip(SKIP_4) | instid1(VALU_DEP_3)
	v_add_f32_e32 v14, v14, v16
	v_mul_f32_e32 v23, 0xbe750f2a, v12
	v_fmamk_f32 v16, v13, 0x3df6dbef, v18
	v_fma_f32 v18, 0x3df6dbef, v13, -v18
	v_fma_f32 v15, 0x3df6dbef, v47, -v48
	v_add_f32_e32 v16, v16, v21
	s_delay_alu instid0(VALU_DEP_3) | instskip(SKIP_3) | instid1(VALU_DEP_3)
	v_add_f32_e32 v18, v18, v22
	v_fmamk_f32 v22, v13, 0xbf788fa5, v23
	v_fma_f32 v23, 0xbf788fa5, v13, -v23
	v_add_f32_e32 v15, v15, v17
	v_dual_mul_f32 v17, 0xbe750f2a, v42 :: v_dual_add_f32 v22, v22, v39
	s_delay_alu instid0(VALU_DEP_3) | instskip(SKIP_1) | instid1(VALU_DEP_3)
	v_add_f32_e32 v23, v23, v31
	v_fmac_f32_e32 v44, 0x3f62ad3f, v51
	v_fma_f32 v21, 0xbf788fa5, v47, -v17
	v_fmac_f32_e32 v17, 0xbf788fa5, v47
	v_mul_f32_e32 v39, 0x3f6f5d39, v12
	s_delay_alu instid0(VALU_DEP_4) | instskip(NEXT) | instid1(VALU_DEP_4)
	v_add_f32_e32 v20, v44, v20
	v_dual_mul_f32 v44, 0x3f6f5d39, v42 :: v_dual_add_f32 v21, v21, v37
	s_delay_alu instid0(VALU_DEP_4) | instskip(NEXT) | instid1(VALU_DEP_2)
	v_add_f32_e32 v17, v17, v30
	v_fma_f32 v37, 0xbeb58ec6, v47, -v44
	s_delay_alu instid0(VALU_DEP_1) | instskip(SKIP_2) | instid1(VALU_DEP_3)
	v_dual_fmac_f32 v44, 0xbeb58ec6, v47 :: v_dual_add_f32 v31, v37, v33
	v_fmamk_f32 v33, v13, 0xbeb58ec6, v39
	v_fma_f32 v37, 0xbeb58ec6, v13, -v39
	v_dual_mul_f32 v46, 0x3eedf032, v12 :: v_dual_add_f32 v27, v44, v27
	s_delay_alu instid0(VALU_DEP_3) | instskip(NEXT) | instid1(VALU_DEP_3)
	v_add_f32_e32 v26, v33, v26
	v_add_f32_e32 v33, v37, v34
	v_mul_f32_e32 v37, 0xbf52af12, v42
	v_mul_f32_e32 v30, 0x3eedf032, v42
	v_fmamk_f32 v34, v13, 0x3f62ad3f, v46
	v_fma_f32 v44, 0x3f62ad3f, v13, -v46
	s_delay_alu instid0(VALU_DEP_3) | instskip(SKIP_1) | instid1(VALU_DEP_4)
	v_fma_f32 v39, 0x3f62ad3f, v47, -v30
	v_fmac_f32_e32 v30, 0x3f62ad3f, v47
	v_add_f32_e32 v34, v34, v35
	v_fma_f32 v35, 0x3f116cb1, v47, -v37
	s_delay_alu instid0(VALU_DEP_4) | instskip(SKIP_4) | instid1(VALU_DEP_4)
	v_dual_add_f32 v25, v44, v25 :: v_dual_add_f32 v24, v39, v24
	v_mul_f32_e32 v39, 0xbf52af12, v12
	v_add_f32_e32 v30, v30, v32
	v_mul_f32_e32 v42, 0xbf29c268, v42
	v_fmac_f32_e32 v37, 0x3f116cb1, v47
	v_dual_add_f32 v35, v35, v40 :: v_dual_fmamk_f32 v32, v13, 0x3f116cb1, v39
	s_delay_alu instid0(VALU_DEP_2) | instskip(NEXT) | instid1(VALU_DEP_2)
	v_dual_add_f32 v37, v37, v41 :: v_dual_mul_f32 v12, 0xbf29c268, v12
	v_add_f32_e32 v32, v32, v36
	v_fma_f32 v36, 0x3f116cb1, v13, -v39
	v_fma_f32 v39, 0xbf3f9e67, v47, -v42
	v_fmac_f32_e32 v48, 0x3df6dbef, v47
	v_fmamk_f32 v41, v13, 0xbf3f9e67, v12
	v_fmac_f32_e32 v42, 0xbf3f9e67, v47
	s_delay_alu instid0(VALU_DEP_4) | instskip(NEXT) | instid1(VALU_DEP_4)
	v_dual_add_f32 v36, v36, v43 :: v_dual_add_f32 v39, v39, v45
	v_dual_add_f32 v38, v48, v38 :: v_dual_add_f32 v43, v6, v8
	v_sub_f32_e32 v6, v8, v6
	v_fma_f32 v8, 0xbf3f9e67, v13, -v12
	v_add_f32_e32 v13, v41, v19
	s_delay_alu instid0(VALU_DEP_3) | instskip(SKIP_4) | instid1(VALU_DEP_4)
	v_dual_add_f32 v19, v42, v20 :: v_dual_mul_f32 v42, 0xbf7e222b, v6
	v_dual_sub_f32 v40, v9, v7 :: v_dual_add_f32 v7, v7, v9
	v_mul_f32_e32 v12, 0xbf6f5d39, v6
	v_add_f32_e32 v8, v8, v14
	v_mul_f32_e32 v20, 0x3f29c268, v6
	v_mul_f32_e32 v44, 0xbf6f5d39, v40
	;; [unrolled: 1-line block ×3, first 2 shown]
	v_fmamk_f32 v14, v7, 0xbeb58ec6, v12
	v_fma_f32 v12, 0xbeb58ec6, v7, -v12
	s_delay_alu instid0(VALU_DEP_4) | instskip(NEXT) | instid1(VALU_DEP_3)
	v_fma_f32 v9, 0xbeb58ec6, v43, -v44
	v_add_f32_e32 v14, v14, v16
	s_delay_alu instid0(VALU_DEP_3) | instskip(NEXT) | instid1(VALU_DEP_3)
	v_add_f32_e32 v12, v12, v18
	v_dual_fmamk_f32 v18, v7, 0xbf3f9e67, v20 :: v_dual_add_f32 v9, v9, v15
	v_mul_f32_e32 v15, 0x3f29c268, v40
	v_fma_f32 v20, 0xbf3f9e67, v7, -v20
	s_delay_alu instid0(VALU_DEP_3) | instskip(NEXT) | instid1(VALU_DEP_3)
	v_add_f32_e32 v18, v18, v22
	v_fma_f32 v16, 0xbf3f9e67, v43, -v15
	s_delay_alu instid0(VALU_DEP_1) | instskip(NEXT) | instid1(VALU_DEP_1)
	v_dual_fmac_f32 v15, 0xbf3f9e67, v43 :: v_dual_add_f32 v16, v16, v21
	v_dual_add_f32 v15, v15, v17 :: v_dual_mul_f32 v22, 0x3eedf032, v6
	v_fma_f32 v21, 0x3f62ad3f, v43, -v41
	v_add_f32_e32 v17, v20, v23
	v_fmac_f32_e32 v41, 0x3f62ad3f, v43
	s_delay_alu instid0(VALU_DEP_4) | instskip(NEXT) | instid1(VALU_DEP_4)
	v_fmamk_f32 v23, v7, 0x3f62ad3f, v22
	v_add_f32_e32 v21, v21, v31
	v_fma_f32 v22, 0x3f62ad3f, v7, -v22
	s_delay_alu instid0(VALU_DEP_3) | instskip(SKIP_3) | instid1(VALU_DEP_3)
	v_dual_add_f32 v23, v23, v26 :: v_dual_add_f32 v26, v41, v27
	v_fmamk_f32 v27, v7, 0x3df6dbef, v42
	v_mul_f32_e32 v20, 0xbf7e222b, v40
	v_fma_f32 v41, 0x3df6dbef, v7, -v42
	v_add_f32_e32 v27, v27, v34
	s_delay_alu instid0(VALU_DEP_3) | instskip(NEXT) | instid1(VALU_DEP_1)
	v_fma_f32 v31, 0x3df6dbef, v43, -v20
	v_dual_add_f32 v25, v41, v25 :: v_dual_add_f32 v24, v31, v24
	v_mul_f32_e32 v31, 0x3e750f2a, v40
	s_delay_alu instid0(VALU_DEP_1) | instskip(SKIP_1) | instid1(VALU_DEP_1)
	v_fma_f32 v34, 0xbf788fa5, v43, -v31
	v_fmac_f32_e32 v31, 0xbf788fa5, v43
	v_add_f32_e32 v31, v31, v37
	v_dual_add_f32 v37, v4, v10 :: v_dual_sub_f32 v4, v10, v4
	v_add_f32_e32 v22, v22, v33
	v_fmac_f32_e32 v20, 0x3df6dbef, v43
	v_dual_mul_f32 v33, 0x3e750f2a, v6 :: v_dual_add_f32 v34, v34, v35
	v_mul_f32_e32 v40, 0x3f52af12, v40
	v_mul_f32_e32 v6, 0x3f52af12, v6
	s_delay_alu instid0(VALU_DEP_4) | instskip(NEXT) | instid1(VALU_DEP_4)
	v_add_f32_e32 v20, v20, v30
	v_fmamk_f32 v30, v7, 0xbf788fa5, v33
	v_sub_f32_e32 v35, v11, v5
	v_dual_add_f32 v5, v5, v11 :: v_dual_mul_f32 v10, 0xbf29c268, v4
	s_delay_alu instid0(VALU_DEP_3) | instskip(SKIP_2) | instid1(VALU_DEP_2)
	v_add_f32_e32 v30, v30, v32
	v_fma_f32 v32, 0xbf788fa5, v7, -v33
	v_fma_f32 v33, 0x3f116cb1, v43, -v40
	v_add_f32_e32 v32, v32, v36
	v_fmamk_f32 v36, v7, 0x3f116cb1, v6
	v_fma_f32 v6, 0x3f116cb1, v7, -v6
	s_delay_alu instid0(VALU_DEP_4) | instskip(SKIP_1) | instid1(VALU_DEP_4)
	v_add_f32_e32 v33, v33, v39
	v_mul_f32_e32 v39, 0xbf29c268, v35
	v_dual_fmac_f32 v44, 0xbeb58ec6, v43 :: v_dual_add_f32 v11, v36, v13
	s_delay_alu instid0(VALU_DEP_4) | instskip(SKIP_1) | instid1(VALU_DEP_4)
	v_add_f32_e32 v6, v6, v8
	v_fmamk_f32 v8, v5, 0xbf3f9e67, v10
	v_fma_f32 v7, 0xbf3f9e67, v37, -v39
	v_fma_f32 v10, 0xbf3f9e67, v5, -v10
	v_dual_add_f32 v38, v44, v38 :: v_dual_fmac_f32 v39, 0xbf3f9e67, v37
	s_delay_alu instid0(VALU_DEP_4) | instskip(NEXT) | instid1(VALU_DEP_4)
	v_add_f32_e32 v8, v8, v14
	v_dual_fmac_f32 v40, 0x3f116cb1, v43 :: v_dual_add_f32 v7, v7, v9
	s_delay_alu instid0(VALU_DEP_4) | instskip(NEXT) | instid1(VALU_DEP_2)
	v_dual_mul_f32 v9, 0x3f7e222b, v35 :: v_dual_add_f32 v10, v10, v12
	v_add_f32_e32 v13, v40, v19
	v_mul_f32_e32 v19, 0x3f7e222b, v4
	s_delay_alu instid0(VALU_DEP_3) | instskip(SKIP_1) | instid1(VALU_DEP_3)
	v_fma_f32 v14, 0x3df6dbef, v37, -v9
	v_fmac_f32_e32 v9, 0x3df6dbef, v37
	v_fmamk_f32 v12, v5, 0x3df6dbef, v19
	s_delay_alu instid0(VALU_DEP_3) | instskip(SKIP_2) | instid1(VALU_DEP_4)
	v_add_f32_e32 v14, v14, v16
	v_fma_f32 v16, 0x3df6dbef, v5, -v19
	v_mul_f32_e32 v19, 0xbf52af12, v4
	v_dual_add_f32 v9, v9, v15 :: v_dual_add_f32 v12, v12, v18
	v_add_f32_e32 v36, v39, v38
	s_delay_alu instid0(VALU_DEP_4) | instskip(SKIP_1) | instid1(VALU_DEP_2)
	v_dual_mul_f32 v38, 0xbf52af12, v35 :: v_dual_add_f32 v15, v16, v17
	v_mul_f32_e32 v39, 0x3e750f2a, v4
	v_fma_f32 v18, 0x3f116cb1, v37, -v38
	v_fmac_f32_e32 v38, 0x3f116cb1, v37
	s_delay_alu instid0(VALU_DEP_2) | instskip(SKIP_1) | instid1(VALU_DEP_2)
	v_dual_add_f32 v17, v18, v21 :: v_dual_fmamk_f32 v18, v5, 0x3f116cb1, v19
	v_fma_f32 v19, 0x3f116cb1, v5, -v19
	v_add_f32_e32 v18, v18, v23
	s_delay_alu instid0(VALU_DEP_4) | instskip(SKIP_1) | instid1(VALU_DEP_4)
	v_add_f32_e32 v23, v38, v26
	v_fma_f32 v38, 0xbf788fa5, v5, -v39
	v_dual_add_f32 v19, v19, v22 :: v_dual_fmamk_f32 v22, v5, 0xbf788fa5, v39
	v_mul_f32_e32 v26, 0x3eedf032, v4
	s_delay_alu instid0(VALU_DEP_3) | instskip(SKIP_1) | instid1(VALU_DEP_4)
	v_dual_mul_f32 v4, 0xbf6f5d39, v4 :: v_dual_add_f32 v25, v38, v25
	v_mul_f32_e32 v16, 0x3e750f2a, v35
	v_add_f32_e32 v22, v22, v27
	s_delay_alu instid0(VALU_DEP_3) | instskip(NEXT) | instid1(VALU_DEP_3)
	v_fma_f32 v2, 0xbeb58ec6, v5, -v4
	v_fma_f32 v21, 0xbf788fa5, v37, -v16
	s_delay_alu instid0(VALU_DEP_1) | instskip(SKIP_1) | instid1(VALU_DEP_2)
	v_dual_fmac_f32 v16, 0xbf788fa5, v37 :: v_dual_add_f32 v21, v21, v24
	v_mul_f32_e32 v24, 0x3eedf032, v35
	v_add_f32_e32 v16, v16, v20
	v_fmamk_f32 v20, v5, 0x3f62ad3f, v26
	v_mul_f32_e32 v35, 0xbf6f5d39, v35
	v_fma_f32 v26, 0x3f62ad3f, v5, -v26
	v_fma_f32 v27, 0x3f62ad3f, v37, -v24
	v_fmac_f32_e32 v24, 0x3f62ad3f, v37
	v_add_f32_e32 v20, v20, v30
	v_fma_f32 v30, 0xbeb58ec6, v37, -v35
	v_fmac_f32_e32 v35, 0xbeb58ec6, v37
	v_dual_add_f32 v27, v27, v34 :: v_dual_sub_f32 v34, v1, v3
	v_dual_add_f32 v1, v3, v1 :: v_dual_add_f32 v26, v26, v32
	s_delay_alu instid0(VALU_DEP_4) | instskip(SKIP_1) | instid1(VALU_DEP_4)
	v_add_f32_e32 v52, v30, v33
	v_fmamk_f32 v30, v5, 0xbeb58ec6, v4
	v_mul_f32_e32 v32, 0xbe750f2a, v34
	v_mul_f32_e32 v4, 0xbe750f2a, v0
	v_add_f32_e32 v24, v24, v31
	s_delay_alu instid0(VALU_DEP_4) | instskip(NEXT) | instid1(VALU_DEP_4)
	v_add_f32_e32 v5, v30, v11
	v_fma_f32 v3, 0xbf788fa5, v49, -v32
	v_fmac_f32_e32 v32, 0xbf788fa5, v49
	v_add_f32_e32 v11, v35, v13
	s_delay_alu instid0(VALU_DEP_3)
	v_dual_add_f32 v30, v3, v7 :: v_dual_fmamk_f32 v3, v1, 0xbf788fa5, v4
	v_add_f32_e32 v2, v2, v6
	v_mul_f32_e32 v6, 0x3eedf032, v34
	v_fma_f32 v4, 0xbf788fa5, v1, -v4
	v_mul_f32_e32 v7, 0x3eedf032, v0
	v_dual_add_f32 v31, v3, v8 :: v_dual_mul_f32 v8, 0xbf29c268, v34
	s_delay_alu instid0(VALU_DEP_4) | instskip(NEXT) | instid1(VALU_DEP_3)
	v_fma_f32 v3, 0x3f62ad3f, v49, -v6
	v_dual_add_f32 v33, v4, v10 :: v_dual_fmamk_f32 v4, v1, 0x3f62ad3f, v7
	s_delay_alu instid0(VALU_DEP_1) | instskip(SKIP_1) | instid1(VALU_DEP_4)
	v_dual_fmac_f32 v6, 0x3f62ad3f, v49 :: v_dual_add_f32 v37, v4, v12
	v_add_f32_e32 v32, v32, v36
	v_add_f32_e32 v36, v3, v14
	v_fma_f32 v3, 0x3f62ad3f, v1, -v7
	v_fma_f32 v4, 0xbf3f9e67, v49, -v8
	v_dual_mul_f32 v7, 0xbf29c268, v0 :: v_dual_add_f32 v42, v6, v9
	s_delay_alu instid0(VALU_DEP_3) | instskip(NEXT) | instid1(VALU_DEP_3)
	v_dual_fmac_f32 v8, 0xbf3f9e67, v49 :: v_dual_add_f32 v43, v3, v15
	v_dual_mul_f32 v3, 0x3f52af12, v34 :: v_dual_add_f32 v38, v4, v17
	s_delay_alu instid0(VALU_DEP_3) | instskip(SKIP_2) | instid1(VALU_DEP_4)
	v_fmamk_f32 v4, v1, 0xbf3f9e67, v7
	v_fma_f32 v6, 0xbf3f9e67, v1, -v7
	v_mul_f32_e32 v9, 0x3f52af12, v0
	v_fma_f32 v7, 0x3f116cb1, v49, -v3
	v_add_f32_e32 v40, v8, v23
	v_add_f32_e32 v39, v4, v18
	s_delay_alu instid0(VALU_DEP_4) | instskip(NEXT) | instid1(VALU_DEP_4)
	v_dual_add_f32 v41, v6, v19 :: v_dual_fmamk_f32 v4, v1, 0x3f116cb1, v9
	v_add_f32_e32 v44, v7, v21
	v_mul_f32_e32 v6, 0xbf6f5d39, v34
	v_fmac_f32_e32 v3, 0x3f116cb1, v49
	v_fma_f32 v7, 0x3f116cb1, v1, -v9
	v_mul_f32_e32 v8, 0xbf6f5d39, v0
	s_delay_alu instid0(VALU_DEP_2) | instskip(NEXT) | instid1(VALU_DEP_1)
	v_dual_mul_f32 v0, 0x3f7e222b, v0 :: v_dual_add_f32 v51, v7, v25
	v_dual_fmamk_f32 v7, v1, 0x3df6dbef, v0 :: v_dual_add_f32 v50, v3, v16
	s_delay_alu instid0(VALU_DEP_3)
	v_fmamk_f32 v3, v1, 0xbeb58ec6, v8
	v_add_f32_e32 v45, v4, v22
	v_fma_f32 v4, 0xbeb58ec6, v49, -v6
	v_fmac_f32_e32 v6, 0xbeb58ec6, v49
	v_fma_f32 v0, 0x3df6dbef, v1, -v0
	v_add_f32_e32 v47, v3, v20
	v_fma_f32 v3, 0xbeb58ec6, v1, -v8
	v_add_f32_e32 v46, v4, v27
	v_mul_f32_e32 v4, 0x3f7e222b, v34
	v_dual_add_f32 v48, v6, v24 :: v_dual_add_f32 v53, v7, v5
	v_add_f32_e32 v55, v0, v2
	s_delay_alu instid0(VALU_DEP_3) | instskip(SKIP_1) | instid1(VALU_DEP_2)
	v_fma_f32 v6, 0x3df6dbef, v49, -v4
	v_dual_fmac_f32 v4, 0x3df6dbef, v49 :: v_dual_add_f32 v49, v3, v26
	v_add_f32_e32 v52, v6, v52
	s_delay_alu instid0(VALU_DEP_2)
	v_add_f32_e32 v54, v4, v11
	s_and_saveexec_b32 s2, vcc_lo
	s_cbranch_execz .LBB0_7
; %bb.6:
	v_and_b32_e32 v0, 0xffff, v77
	s_delay_alu instid0(VALU_DEP_1)
	v_lshlrev_b32_e32 v0, 3, v0
	ds_store_2addr_b64 v0, v[28:29], v[30:31] offset1:1
	ds_store_2addr_b64 v0, v[36:37], v[38:39] offset0:2 offset1:3
	ds_store_2addr_b64 v0, v[44:45], v[46:47] offset0:4 offset1:5
	;; [unrolled: 1-line block ×5, first 2 shown]
	ds_store_b64 v0, v[32:33] offset:96
.LBB0_7:
	s_wait_alu 0xfffe
	s_or_b32 exec_lo, exec_lo, s2
	s_clause 0x1
	s_load_b64 s[4:5], s[0:1], 0x20
	s_load_b64 s[2:3], s[0:1], 0x8
	v_cmp_gt_u16_e64 s0, 0x41, v75
	global_wb scope:SCOPE_SE
	s_wait_dscnt 0x0
	s_wait_kmcnt 0x0
	s_barrier_signal -1
	s_barrier_wait -1
	global_inv scope:SCOPE_SE
                                        ; implicit-def: $vgpr58
	s_and_saveexec_b32 s1, s0
	s_cbranch_execz .LBB0_9
; %bb.8:
	v_add_nc_u32_e32 v0, 0x800, v74
	v_add_nc_u32_e32 v1, 0x1000, v74
	;; [unrolled: 1-line block ×3, first 2 shown]
	ds_load_2addr_b64 v[28:31], v74 offset1:65
	ds_load_2addr_b64 v[36:39], v74 offset0:130 offset1:195
	ds_load_2addr_b64 v[44:47], v0 offset0:4 offset1:69
	ds_load_2addr_b64 v[52:55], v0 offset0:134 offset1:199
	ds_load_2addr_b64 v[48:51], v1 offset0:8 offset1:73
	ds_load_2addr_b64 v[40:43], v1 offset0:138 offset1:203
	ds_load_2addr_b64 v[32:35], v2 offset0:12 offset1:77
	ds_load_2addr_b64 v[56:59], v2 offset0:142 offset1:207
.LBB0_9:
	s_wait_alu 0xfffe
	s_or_b32 exec_lo, exec_lo, s1
	v_and_b32_e32 v0, 0xff, v75
	s_delay_alu instid0(VALU_DEP_1) | instskip(NEXT) | instid1(VALU_DEP_1)
	v_mul_lo_u16 v0, 0x4f, v0
	v_lshrrev_b16 v62, 10, v0
	s_delay_alu instid0(VALU_DEP_1) | instskip(NEXT) | instid1(VALU_DEP_1)
	v_mul_lo_u16 v0, v62, 13
	v_sub_nc_u16 v0, v75, v0
	s_delay_alu instid0(VALU_DEP_1) | instskip(NEXT) | instid1(VALU_DEP_1)
	v_and_b32_e32 v76, 0xff, v0
	v_mad_co_u64_u32 v[60:61], null, 0x78, v76, s[2:3]
	s_clause 0x7
	global_load_b128 v[8:11], v[60:61], off
	global_load_b128 v[4:7], v[60:61], off offset:16
	global_load_b128 v[12:15], v[60:61], off offset:32
	global_load_b128 v[0:3], v[60:61], off offset:48
	global_load_b128 v[20:23], v[60:61], off offset:64
	global_load_b128 v[16:19], v[60:61], off offset:80
	global_load_b128 v[24:27], v[60:61], off offset:96
	global_load_b64 v[71:72], v[60:61], off offset:112
	global_wb scope:SCOPE_SE
	s_wait_loadcnt_dscnt 0x0
	s_barrier_signal -1
	s_barrier_wait -1
	global_inv scope:SCOPE_SE
	v_dual_mul_f32 v63, v37, v11 :: v_dual_mul_f32 v60, v31, v9
	v_mul_f32_e32 v67, v45, v7
	v_dual_mul_f32 v61, v30, v9 :: v_dual_mul_f32 v80, v52, v15
	v_mul_f32_e32 v81, v55, v1
	v_dual_mul_f32 v94, v34, v25 :: v_dual_mul_f32 v97, v59, v72
	v_dual_mul_f32 v64, v36, v11 :: v_dual_mul_f32 v65, v39, v5
	;; [unrolled: 1-line block ×8, first 2 shown]
	v_dual_mul_f32 v96, v56, v27 :: v_dual_fmac_f32 v61, v31, v8
	v_fma_f32 v31, v44, v6, -v67
	v_fma_f32 v44, v54, v0, -v81
	v_fmac_f32_e32 v94, v35, v24
	v_fma_f32 v35, v58, v71, -v97
	v_dual_mul_f32 v78, v46, v13 :: v_dual_mul_f32 v83, v49, v3
	v_dual_mul_f32 v86, v50, v21 :: v_dual_mul_f32 v91, v33, v19
	v_fma_f32 v36, v36, v10, -v63
	s_delay_alu instid0(VALU_DEP_4)
	v_dual_fmac_f32 v80, v53, v14 :: v_dual_sub_f32 v35, v44, v35
	v_fma_f32 v40, v40, v22, -v87
	v_fmac_f32_e32 v88, v41, v22
	v_fmac_f32_e32 v68, v45, v6
	v_fmac_f32_e32 v92, v33, v18
	v_fmac_f32_e32 v64, v37, v10
	v_fma_f32 v37, v38, v4, -v65
	v_fma_f32 v38, v46, v12, -v69
	;; [unrolled: 1-line block ×3, first 2 shown]
	v_fmac_f32_e32 v66, v39, v4
	v_fma_f32 v39, v52, v14, -v79
	v_fma_f32 v34, v56, v26, -v95
	;; [unrolled: 1-line block ×3, first 2 shown]
	v_sub_f32_e32 v33, v38, v33
	v_fma_f32 v41, v42, v16, -v89
	v_fma_f32 v32, v32, v18, -v91
	v_sub_f32_e32 v40, v36, v40
	v_sub_f32_e32 v34, v39, v34
	s_delay_alu instid0(VALU_DEP_4)
	v_dual_fmac_f32 v78, v47, v12 :: v_dual_sub_f32 v41, v37, v41
	v_sub_f32_e32 v42, v28, v45
	v_sub_f32_e32 v32, v31, v32
	v_fma_f32 v36, v36, 2.0, -v40
	v_fma_f32 v39, v39, 2.0, -v34
	v_fmac_f32_e32 v90, v43, v16
	v_dual_mul_f32 v84, v48, v3 :: v_dual_mul_f32 v85, v51, v21
	v_sub_f32_e32 v45, v68, v92
	v_fma_f32 v28, v28, 2.0, -v42
	v_fma_f32 v31, v31, 2.0, -v32
	v_dual_fmac_f32 v86, v51, v20 :: v_dual_sub_f32 v39, v36, v39
	v_dual_fmac_f32 v82, v55, v0 :: v_dual_sub_f32 v51, v66, v90
	v_fmac_f32_e32 v84, v49, v2
	v_fma_f32 v44, v44, 2.0, -v35
	v_dual_sub_f32 v31, v28, v31 :: v_dual_mul_f32 v98, v58, v72
	v_sub_f32_e32 v49, v61, v86
	v_add_f32_e32 v35, v51, v35
	v_sub_f32_e32 v47, v64, v88
	v_fma_f32 v53, v68, 2.0, -v45
	v_dual_sub_f32 v45, v42, v45 :: v_dual_fmac_f32 v96, v57, v26
	v_fma_f32 v30, v30, v8, -v60
	v_fma_f32 v46, v50, v20, -v85
	v_dual_fmac_f32 v98, v59, v71 :: v_dual_sub_f32 v43, v29, v84
	s_delay_alu instid0(VALU_DEP_4)
	v_sub_f32_e32 v48, v80, v96
	v_fma_f32 v37, v37, 2.0, -v41
	v_sub_f32_e32 v50, v78, v94
	v_fma_f32 v38, v38, 2.0, -v33
	v_add_f32_e32 v60, v43, v32
	v_sub_f32_e32 v32, v40, v48
	v_sub_f32_e32 v46, v30, v46
	;; [unrolled: 1-line block ×3, first 2 shown]
	v_fma_f32 v55, v80, 2.0, -v48
	v_fma_f32 v57, v78, 2.0, -v50
	v_fma_f32 v29, v29, 2.0, -v43
	v_fma_f32 v58, v66, 2.0, -v51
	v_fma_f32 v37, v37, 2.0, -v44
	v_sub_f32_e32 v48, v46, v50
	v_add_f32_e32 v50, v49, v33
	v_fma_f32 v51, v51, 2.0, -v35
	v_fma_f32 v56, v61, 2.0, -v49
	;; [unrolled: 1-line block ×4, first 2 shown]
	v_dual_fmamk_f32 v65, v35, 0x3f3504f3, v50 :: v_dual_sub_f32 v52, v82, v98
	v_fma_f32 v40, v40, 2.0, -v32
	s_delay_alu instid0(VALU_DEP_2) | instskip(NEXT) | instid1(VALU_DEP_1)
	v_sub_f32_e32 v33, v41, v52
	v_fmac_f32_e32 v65, 0x3f3504f3, v33
	v_fma_f32 v59, v82, 2.0, -v52
	v_sub_f32_e32 v52, v29, v53
	v_fma_f32 v53, v42, 2.0, -v45
	v_fma_f32 v41, v41, 2.0, -v33
	s_delay_alu instid0(VALU_DEP_2) | instskip(NEXT) | instid1(VALU_DEP_1)
	v_dual_fmamk_f32 v67, v40, 0xbf3504f3, v53 :: v_dual_add_f32 v34, v47, v34
	v_fma_f32 v43, v47, 2.0, -v34
	v_sub_f32_e32 v47, v56, v57
	v_fmamk_f32 v57, v32, 0x3f3504f3, v45
	s_delay_alu instid0(VALU_DEP_3) | instskip(SKIP_1) | instid1(VALU_DEP_3)
	v_fmac_f32_e32 v67, 0xbf3504f3, v43
	v_fmamk_f32 v68, v43, 0xbf3504f3, v61
	v_fmac_f32_e32 v57, 0xbf3504f3, v34
	v_fmamk_f32 v63, v34, 0x3f3504f3, v60
	s_delay_alu instid0(VALU_DEP_3) | instskip(SKIP_1) | instid1(VALU_DEP_3)
	v_fmac_f32_e32 v68, 0x3f3504f3, v40
	v_add_f32_e32 v44, v47, v44
	v_fmac_f32_e32 v63, 0x3f3504f3, v32
	v_fma_f32 v30, v30, 2.0, -v46
	v_sub_f32_e32 v42, v54, v55
	v_sub_f32_e32 v55, v58, v59
	v_fma_f32 v59, v28, 2.0, -v31
	v_fma_f32 v28, v36, 2.0, -v39
	v_dual_sub_f32 v38, v30, v38 :: v_dual_fmamk_f32 v43, v65, 0x3f6c835e, v63
	v_fma_f32 v32, v45, 2.0, -v57
	s_delay_alu instid0(VALU_DEP_2) | instskip(NEXT) | instid1(VALU_DEP_1)
	v_fma_f32 v36, v30, 2.0, -v38
	v_sub_f32_e32 v37, v36, v37
	v_fma_f32 v46, v46, 2.0, -v48
	s_delay_alu instid0(VALU_DEP_1) | instskip(NEXT) | instid1(VALU_DEP_1)
	v_fmamk_f32 v79, v41, 0xbf3504f3, v46
	v_fmac_f32_e32 v79, 0xbf3504f3, v51
	v_fma_f32 v66, v29, 2.0, -v52
	v_fma_f32 v29, v54, 2.0, -v42
	;; [unrolled: 1-line block ×4, first 2 shown]
	v_dual_sub_f32 v55, v38, v55 :: v_dual_sub_f32 v28, v59, v28
	s_delay_alu instid0(VALU_DEP_4)
	v_sub_f32_e32 v30, v66, v29
	v_fmamk_f32 v64, v33, 0x3f3504f3, v48
	v_fma_f32 v33, v60, 2.0, -v63
	v_dual_add_f32 v78, v52, v39 :: v_dual_sub_f32 v39, v54, v56
	v_fma_f32 v49, v49, 2.0, -v50
	v_fma_f32 v81, v50, 2.0, -v65
	;; [unrolled: 1-line block ×3, first 2 shown]
	v_fmamk_f32 v38, v79, 0x3ec3ef15, v67
	v_fma_f32 v50, v54, 2.0, -v39
	v_fmamk_f32 v80, v51, 0xbf3504f3, v49
	v_fmac_f32_e32 v64, 0xbf3504f3, v35
	v_fma_f32 v35, v66, 2.0, -v30
	v_fma_f32 v54, v46, 2.0, -v79
	s_delay_alu instid0(VALU_DEP_4) | instskip(NEXT) | instid1(VALU_DEP_1)
	v_fmac_f32_e32 v80, 0x3f3504f3, v41
	v_fma_f32 v66, v49, 2.0, -v80
	s_delay_alu instid0(VALU_DEP_4)
	v_sub_f32_e32 v49, v35, v50
	v_fma_f32 v56, v48, 2.0, -v64
	v_fma_f32 v48, v36, 2.0, -v37
	v_sub_f32_e32 v36, v28, v39
	v_fmamk_f32 v39, v80, 0x3ec3ef15, v68
	v_fmamk_f32 v41, v44, 0x3f3504f3, v78
	v_sub_f32_e32 v69, v31, v42
	v_fma_f32 v47, v47, 2.0, -v44
	v_fmamk_f32 v42, v64, 0x3f6c835e, v57
	v_fmamk_f32 v60, v56, 0xbec3ef15, v32
	v_fmac_f32_e32 v41, 0x3f3504f3, v55
	v_fma_f32 v29, v31, 2.0, -v69
	v_fma_f32 v31, v52, 2.0, -v78
	v_fma_f32 v34, v59, 2.0, -v28
	v_fmamk_f32 v40, v55, 0x3f3504f3, v69
	v_fma_f32 v52, v53, 2.0, -v67
	v_fmamk_f32 v58, v45, 0xbf3504f3, v29
	v_fmamk_f32 v59, v47, 0xbf3504f3, v31
	v_fmac_f32_e32 v42, 0xbec3ef15, v65
	v_fmac_f32_e32 v40, 0xbf3504f3, v44
	;; [unrolled: 1-line block ×3, first 2 shown]
	v_dual_sub_f32 v48, v34, v48 :: v_dual_fmac_f32 v39, 0x3f6c835e, v79
	v_fmac_f32_e32 v59, 0x3f3504f3, v45
	v_fma_f32 v53, v61, 2.0, -v68
	v_fmamk_f32 v61, v81, 0xbec3ef15, v33
	v_fmamk_f32 v50, v54, 0xbf6c835e, v52
	v_dual_fmac_f32 v38, 0xbf6c835e, v80 :: v_dual_add_f32 v37, v30, v37
	s_delay_alu instid0(VALU_DEP_4)
	v_fmamk_f32 v51, v66, 0xbf6c835e, v53
	v_fmac_f32_e32 v58, 0xbf3504f3, v47
	v_fmac_f32_e32 v60, 0xbf6c835e, v81
	;; [unrolled: 1-line block ×3, first 2 shown]
	v_fma_f32 v44, v69, 2.0, -v40
	v_fma_f32 v45, v78, 2.0, -v41
	v_fma_f32 v46, v57, 2.0, -v42
	v_fma_f32 v47, v63, 2.0, -v43
	v_fmac_f32_e32 v50, 0xbec3ef15, v66
	v_fmac_f32_e32 v51, 0x3ec3ef15, v54
	v_fma_f32 v54, v67, 2.0, -v38
	v_fma_f32 v55, v68, 2.0, -v39
	v_and_b32_e32 v78, 0xffff, v62
	s_and_saveexec_b32 s1, s0
	s_cbranch_execz .LBB0_11
; %bb.10:
	s_delay_alu instid0(VALU_DEP_1)
	v_mul_u32_u24_e32 v56, 0xd0, v78
	v_fma_f32 v57, v31, 2.0, -v59
	v_fma_f32 v53, v53, 2.0, -v51
	;; [unrolled: 1-line block ×4, first 2 shown]
	v_or_b32_e32 v31, v56, v76
	v_fma_f32 v34, v34, 2.0, -v48
	v_fma_f32 v33, v33, 2.0, -v61
	;; [unrolled: 1-line block ×4, first 2 shown]
	v_lshlrev_b32_e32 v31, 3, v31
	v_fma_f32 v30, v30, 2.0, -v37
	v_fma_f32 v29, v28, 2.0, -v36
	ds_store_2addr_b64 v31, v[34:35], v[52:53] offset1:13
	ds_store_2addr_b64 v31, v[56:57], v[32:33] offset0:26 offset1:39
	ds_store_2addr_b64 v31, v[29:30], v[54:55] offset0:52 offset1:65
	;; [unrolled: 1-line block ×7, first 2 shown]
.LBB0_11:
	s_wait_alu 0xfffe
	s_or_b32 exec_lo, exec_lo, s1
	v_lshlrev_b32_e32 v28, 5, v75
	s_load_b128 s[4:7], s[4:5], 0x0
	global_wb scope:SCOPE_SE
	s_wait_dscnt 0x0
	s_wait_kmcnt 0x0
	s_barrier_signal -1
	s_barrier_wait -1
	global_inv scope:SCOPE_SE
	s_clause 0x1
	global_load_b128 v[32:35], v28, s[2:3] offset:1560
	global_load_b128 v[28:31], v28, s[2:3] offset:1576
	v_add_nc_u32_e32 v56, 0xc00, v74
	ds_load_2addr_b64 v[62:65], v74 offset1:208
	ds_load_2addr_b64 v[66:69], v56 offset0:32 offset1:240
	ds_load_b64 v[52:53], v74 offset:6656
	s_wait_loadcnt_dscnt 0x102
	v_mul_f32_e32 v79, v64, v33
	s_wait_dscnt 0x1
	v_dual_mul_f32 v57, v65, v33 :: v_dual_mul_f32 v80, v67, v35
	s_wait_loadcnt 0x0
	v_mul_f32_e32 v83, v68, v29
	v_dual_mul_f32 v81, v66, v35 :: v_dual_mul_f32 v82, v69, v29
	s_wait_dscnt 0x0
	v_mul_f32_e32 v84, v53, v31
	v_fma_f32 v57, v64, v32, -v57
	v_mul_f32_e32 v85, v52, v31
	v_fma_f32 v64, v66, v34, -v80
	v_fmac_f32_e32 v81, v67, v34
	v_fma_f32 v66, v68, v28, -v82
	v_fma_f32 v67, v52, v30, -v84
	v_dual_add_f32 v52, v62, v57 :: v_dual_fmac_f32 v79, v65, v32
	v_dual_fmac_f32 v85, v53, v30 :: v_dual_sub_f32 v84, v64, v57
	s_delay_alu instid0(VALU_DEP_3) | instskip(SKIP_1) | instid1(VALU_DEP_3)
	v_dual_sub_f32 v68, v67, v66 :: v_dual_fmac_f32 v83, v69, v28
	v_dual_sub_f32 v65, v57, v64 :: v_dual_sub_f32 v86, v66, v67
	v_dual_sub_f32 v80, v79, v85 :: v_dual_add_f32 v53, v64, v66
	s_delay_alu instid0(VALU_DEP_3)
	v_sub_f32_e32 v82, v81, v83
	v_dual_add_f32 v69, v57, v67 :: v_dual_sub_f32 v90, v79, v81
	v_dual_add_f32 v87, v63, v79 :: v_dual_add_f32 v94, v52, v64
	v_dual_add_f32 v88, v81, v83 :: v_dual_sub_f32 v89, v64, v66
	v_dual_sub_f32 v57, v57, v67 :: v_dual_add_f32 v92, v79, v85
	v_dual_sub_f32 v91, v85, v83 :: v_dual_add_f32 v84, v84, v86
	v_fma_f32 v52, -0.5, v53, v62
	v_fma_f32 v64, -0.5, v69, v62
	v_add_f32_e32 v95, v65, v68
	v_add_f32_e32 v69, v87, v81
	v_fma_f32 v53, -0.5, v88, v63
	v_fma_f32 v65, -0.5, v92, v63
	v_dual_sub_f32 v79, v81, v79 :: v_dual_add_f32 v66, v94, v66
	v_dual_sub_f32 v93, v83, v85 :: v_dual_fmamk_f32 v68, v80, 0x3f737871, v52
	v_dual_add_f32 v81, v90, v91 :: v_dual_fmac_f32 v52, 0xbf737871, v80
	v_fmamk_f32 v62, v82, 0xbf737871, v64
	v_dual_fmac_f32 v64, 0x3f737871, v82 :: v_dual_add_f32 v83, v69, v83
	s_delay_alu instid0(VALU_DEP_4)
	v_fmac_f32_e32 v68, 0x3f167918, v82
	v_fmamk_f32 v69, v57, 0xbf737871, v53
	v_fmac_f32_e32 v53, 0x3f737871, v57
	v_fmamk_f32 v63, v89, 0x3f737871, v65
	v_fmac_f32_e32 v65, 0xbf737871, v89
	v_dual_add_f32 v79, v79, v93 :: v_dual_add_f32 v66, v66, v67
	v_dual_fmac_f32 v52, 0xbf167918, v82 :: v_dual_add_f32 v67, v83, v85
	v_dual_fmac_f32 v62, 0x3f167918, v80 :: v_dual_fmac_f32 v53, 0x3f167918, v89
	v_dual_fmac_f32 v64, 0xbf167918, v80 :: v_dual_fmac_f32 v69, 0xbf167918, v89
	v_fmac_f32_e32 v63, 0xbf167918, v57
	v_fmac_f32_e32 v65, 0x3f167918, v57
	;; [unrolled: 1-line block ×3, first 2 shown]
	v_dual_fmac_f32 v52, 0x3e9e377a, v95 :: v_dual_fmac_f32 v53, 0x3e9e377a, v81
	s_delay_alu instid0(VALU_DEP_4) | instskip(NEXT) | instid1(VALU_DEP_4)
	v_dual_fmac_f32 v62, 0x3e9e377a, v84 :: v_dual_fmac_f32 v63, 0x3e9e377a, v79
	v_dual_fmac_f32 v64, 0x3e9e377a, v84 :: v_dual_fmac_f32 v65, 0x3e9e377a, v79
	v_fmac_f32_e32 v69, 0x3e9e377a, v81
	ds_store_2addr_b64 v74, v[66:67], v[68:69] offset1:208
	ds_store_2addr_b64 v56, v[62:63], v[64:65] offset0:32 offset1:240
	ds_store_b64 v74, v[52:53] offset:6656
	global_wb scope:SCOPE_SE
	s_wait_dscnt 0x0
	s_barrier_signal -1
	s_barrier_wait -1
	global_inv scope:SCOPE_SE
	s_and_saveexec_b32 s1, vcc_lo
	s_cbranch_execz .LBB0_13
; %bb.12:
	global_load_b64 v[56:57], v74, s[12:13] offset:8320
	s_add_nc_u64 s[2:3], s[12:13], 0x2080
	s_clause 0xb
	global_load_b64 v[103:104], v74, s[2:3] offset:640
	global_load_b64 v[105:106], v74, s[2:3] offset:1280
	;; [unrolled: 1-line block ×12, first 2 shown]
	ds_load_b64 v[79:80], v74
	v_add_nc_u32_e32 v127, 0x400, v74
	v_add_nc_u32_e32 v128, 0x800, v74
	;; [unrolled: 1-line block ×3, first 2 shown]
	s_wait_loadcnt_dscnt 0xc00
	v_mul_f32_e32 v81, v80, v57
	v_mul_f32_e32 v82, v79, v57
	s_delay_alu instid0(VALU_DEP_2) | instskip(NEXT) | instid1(VALU_DEP_2)
	v_fma_f32 v81, v79, v56, -v81
	v_fmac_f32_e32 v82, v80, v56
	ds_store_b64 v74, v[81:82]
	ds_load_2addr_b64 v[79:82], v74 offset0:80 offset1:160
	v_add_nc_u32_e32 v130, 0x1400, v74
	ds_load_2addr_b64 v[83:86], v127 offset0:112 offset1:192
	v_add_nc_u32_e32 v131, 0x1800, v74
	ds_load_2addr_b64 v[87:90], v128 offset0:144 offset1:224
	ds_load_2addr_b64 v[91:94], v129 offset0:48 offset1:128
	s_wait_loadcnt_dscnt 0xb03
	v_mul_f32_e32 v56, v80, v104
	v_mul_f32_e32 v57, v79, v104
	ds_load_2addr_b64 v[95:98], v130 offset0:80 offset1:160
	ds_load_2addr_b64 v[99:102], v131 offset0:112 offset1:192
	s_wait_loadcnt_dscnt 0x904
	v_dual_mul_f32 v132, v82, v106 :: v_dual_mul_f32 v133, v84, v108
	s_wait_loadcnt_dscnt 0x703
	v_dual_mul_f32 v104, v81, v106 :: v_dual_mul_f32 v135, v88, v112
	v_dual_mul_f32 v106, v83, v108 :: v_dual_fmac_f32 v57, v80, v103
	s_wait_loadcnt_dscnt 0x502
	v_dual_mul_f32 v134, v86, v110 :: v_dual_mul_f32 v137, v92, v116
	v_mul_f32_e32 v108, v85, v110
	v_mul_f32_e32 v110, v87, v112
	;; [unrolled: 1-line block ×5, first 2 shown]
	s_wait_loadcnt 0x4
	v_mul_f32_e32 v138, v94, v118
	v_mul_f32_e32 v116, v93, v118
	v_fma_f32 v56, v79, v103, -v56
	v_fma_f32 v103, v81, v105, -v132
	s_wait_loadcnt_dscnt 0x301
	v_dual_fmac_f32 v104, v82, v105 :: v_dual_mul_f32 v139, v96, v120
	s_wait_loadcnt_dscnt 0x100
	v_mul_f32_e32 v141, v100, v124
	v_mul_f32_e32 v118, v95, v120
	;; [unrolled: 1-line block ×5, first 2 shown]
	s_wait_loadcnt 0x0
	v_mul_f32_e32 v142, v102, v126
	v_mul_f32_e32 v124, v101, v126
	v_fma_f32 v105, v83, v107, -v133
	v_fmac_f32_e32 v106, v84, v107
	v_fma_f32 v107, v85, v109, -v134
	v_fmac_f32_e32 v108, v86, v109
	;; [unrolled: 2-line block ×10, first 2 shown]
	ds_store_2addr_b64 v74, v[56:57], v[103:104] offset0:80 offset1:160
	ds_store_2addr_b64 v127, v[105:106], v[107:108] offset0:112 offset1:192
	;; [unrolled: 1-line block ×6, first 2 shown]
.LBB0_13:
	s_wait_alu 0xfffe
	s_or_b32 exec_lo, exec_lo, s1
	global_wb scope:SCOPE_SE
	s_wait_dscnt 0x0
	s_barrier_signal -1
	s_barrier_wait -1
	global_inv scope:SCOPE_SE
	s_and_saveexec_b32 s1, vcc_lo
	s_cbranch_execz .LBB0_15
; %bb.14:
	v_add_nc_u32_e32 v36, 0x800, v74
	v_add_nc_u32_e32 v37, 0xc00, v74
	v_add_nc_u32_e32 v48, 0x1000, v74
	v_add_nc_u32_e32 v56, 0x1800, v74
	ds_load_2addr_b64 v[66:69], v74 offset1:80
	ds_load_2addr_b64 v[62:65], v74 offset0:160 offset1:240
	ds_load_2addr_b64 v[52:55], v36 offset0:64 offset1:144
	;; [unrolled: 1-line block ×5, first 2 shown]
	ds_load_b64 v[36:37], v74 offset:7680
.LBB0_15:
	s_wait_alu 0xfffe
	s_or_b32 exec_lo, exec_lo, s1
	s_wait_dscnt 0x6
	v_dual_add_f32 v56, v68, v66 :: v_dual_add_f32 v57, v69, v67
	s_wait_dscnt 0x0
	v_dual_add_f32 v79, v36, v68 :: v_dual_sub_f32 v80, v69, v37
	v_dual_add_f32 v69, v37, v69 :: v_dual_sub_f32 v68, v68, v36
	s_delay_alu instid0(VALU_DEP_3) | instskip(NEXT) | instid1(VALU_DEP_3)
	v_dual_add_f32 v56, v62, v56 :: v_dual_add_f32 v57, v63, v57
	v_mul_f32_e32 v83, 0xbf52af12, v80
	s_delay_alu instid0(VALU_DEP_3)
	v_mul_f32_e32 v96, 0xbf3f9e67, v69
	global_wb scope:SCOPE_SE
	v_dual_add_f32 v56, v64, v56 :: v_dual_add_f32 v57, v65, v57
	v_fmamk_f32 v90, v79, 0x3f116cb1, v83
	v_fmamk_f32 v98, v68, 0x3f29c268, v96
	s_barrier_signal -1
	s_delay_alu instid0(VALU_DEP_3) | instskip(NEXT) | instid1(VALU_DEP_3)
	v_dual_add_f32 v56, v52, v56 :: v_dual_add_f32 v57, v53, v57
	v_add_f32_e32 v90, v66, v90
	v_fma_f32 v83, 0x3f116cb1, v79, -v83
	v_mul_f32_e32 v84, 0x3f116cb1, v69
	s_delay_alu instid0(VALU_DEP_4) | instskip(SKIP_1) | instid1(VALU_DEP_3)
	v_dual_add_f32 v56, v54, v56 :: v_dual_add_f32 v57, v55, v57
	s_barrier_wait -1
	v_add_f32_e32 v83, v66, v83
	s_delay_alu instid0(VALU_DEP_3)
	v_fmamk_f32 v91, v68, 0x3f52af12, v84
	v_mul_f32_e32 v82, 0x3f62ad3f, v69
	v_add_f32_e32 v56, v44, v56
	global_inv scope:SCOPE_SE
	v_add_f32_e32 v57, v45, v57
	v_add_f32_e32 v91, v67, v91
	v_fmamk_f32 v89, v68, 0x3eedf032, v82
	v_fmac_f32_e32 v82, 0xbeedf032, v68
	v_mul_f32_e32 v81, 0xbeedf032, v80
	v_dual_add_f32 v57, v47, v57 :: v_dual_add_f32 v56, v46, v56
	s_delay_alu instid0(VALU_DEP_4) | instskip(NEXT) | instid1(VALU_DEP_4)
	v_add_f32_e32 v89, v67, v89
	v_add_f32_e32 v82, v67, v82
	s_delay_alu instid0(VALU_DEP_3) | instskip(NEXT) | instid1(VALU_DEP_4)
	v_dual_fmamk_f32 v88, v79, 0x3f62ad3f, v81 :: v_dual_add_f32 v57, v49, v57
	v_add_f32_e32 v56, v48, v56
	v_fmac_f32_e32 v84, 0xbf52af12, v68
	v_fma_f32 v81, 0x3f62ad3f, v79, -v81
	v_sub_f32_e32 v100, v63, v61
	s_delay_alu instid0(VALU_DEP_4) | instskip(SKIP_1) | instid1(VALU_DEP_4)
	v_dual_add_f32 v57, v51, v57 :: v_dual_add_f32 v56, v50, v56
	v_add_f32_e32 v88, v66, v88
	v_dual_add_f32 v81, v66, v81 :: v_dual_add_f32 v102, v60, v62
	s_delay_alu instid0(VALU_DEP_3) | instskip(NEXT) | instid1(VALU_DEP_1)
	v_dual_add_f32 v57, v59, v57 :: v_dual_add_f32 v56, v58, v56
	v_dual_add_f32 v57, v61, v57 :: v_dual_add_f32 v56, v60, v56
	;; [unrolled: 1-line block ×3, first 2 shown]
	v_dual_mul_f32 v95, 0xbf29c268, v80 :: v_dual_add_f32 v98, v67, v98
	s_delay_alu instid0(VALU_DEP_3) | instskip(SKIP_1) | instid1(VALU_DEP_3)
	v_dual_add_f32 v56, v36, v56 :: v_dual_add_f32 v57, v37, v57
	v_dual_mul_f32 v37, 0xbeb58ec6, v69 :: v_dual_sub_f32 v60, v62, v60
	v_fmamk_f32 v97, v79, 0xbf3f9e67, v95
	v_fma_f32 v95, 0xbf3f9e67, v79, -v95
	s_delay_alu instid0(VALU_DEP_3) | instskip(SKIP_3) | instid1(VALU_DEP_4)
	v_fmamk_f32 v94, v68, 0x3f6f5d39, v37
	v_mul_f32_e32 v87, 0xbf6f5d39, v80
	v_fmac_f32_e32 v37, 0xbf6f5d39, v68
	v_add_f32_e32 v97, v66, v97
	v_dual_add_f32 v95, v66, v95 :: v_dual_add_f32 v94, v67, v94
	s_delay_alu instid0(VALU_DEP_4) | instskip(SKIP_3) | instid1(VALU_DEP_4)
	v_fmamk_f32 v36, v79, 0xbeb58ec6, v87
	v_fma_f32 v87, 0xbeb58ec6, v79, -v87
	v_mul_f32_e32 v86, 0x3df6dbef, v69
	v_mul_f32_e32 v69, 0xbf788fa5, v69
	v_dual_add_f32 v37, v67, v37 :: v_dual_add_f32 v36, v66, v36
	s_delay_alu instid0(VALU_DEP_4) | instskip(NEXT) | instid1(VALU_DEP_4)
	v_add_f32_e32 v87, v66, v87
	v_fmamk_f32 v93, v68, 0x3f7e222b, v86
	v_fmac_f32_e32 v86, 0xbf7e222b, v68
	v_fmamk_f32 v101, v68, 0x3e750f2a, v69
	s_delay_alu instid0(VALU_DEP_3) | instskip(NEXT) | instid1(VALU_DEP_3)
	v_add_f32_e32 v93, v67, v93
	v_dual_mul_f32 v85, 0xbf7e222b, v80 :: v_dual_add_f32 v86, v67, v86
	v_mul_f32_e32 v80, 0xbe750f2a, v80
	s_delay_alu instid0(VALU_DEP_2) | instskip(SKIP_1) | instid1(VALU_DEP_3)
	v_fmamk_f32 v92, v79, 0x3df6dbef, v85
	v_fma_f32 v85, 0x3df6dbef, v79, -v85
	v_fmamk_f32 v99, v79, 0xbf788fa5, v80
	v_fma_f32 v63, 0xbf788fa5, v79, -v80
	v_add_f32_e32 v79, v67, v101
	v_mul_f32_e32 v101, 0xbf3f9e67, v61
	v_add_f32_e32 v85, v66, v85
	v_dual_add_f32 v99, v66, v99 :: v_dual_fmac_f32 v96, 0xbf29c268, v68
	v_add_f32_e32 v63, v66, v63
	v_add_f32_e32 v92, v66, v92
	s_delay_alu instid0(VALU_DEP_3) | instskip(SKIP_3) | instid1(VALU_DEP_3)
	v_add_f32_e32 v96, v67, v96
	v_fmac_f32_e32 v69, 0xbe750f2a, v68
	v_mul_f32_e32 v103, 0xbf52af12, v100
	v_mul_f32_e32 v68, 0x3f116cb1, v61
	v_dual_add_f32 v66, v67, v69 :: v_dual_mul_f32 v69, 0xbf6f5d39, v100
	s_delay_alu instid0(VALU_DEP_2) | instskip(NEXT) | instid1(VALU_DEP_4)
	v_fmamk_f32 v67, v60, 0x3f52af12, v68
	v_fmamk_f32 v62, v102, 0x3f116cb1, v103
	v_fma_f32 v80, 0x3f116cb1, v102, -v103
	s_delay_alu instid0(VALU_DEP_2) | instskip(SKIP_1) | instid1(VALU_DEP_3)
	v_dual_add_f32 v67, v67, v89 :: v_dual_add_f32 v62, v62, v88
	v_dual_mul_f32 v88, 0xbeb58ec6, v61 :: v_dual_fmamk_f32 v89, v102, 0xbeb58ec6, v69
	v_add_f32_e32 v80, v80, v81
	s_delay_alu instid0(VALU_DEP_2) | instskip(NEXT) | instid1(VALU_DEP_3)
	v_fmamk_f32 v81, v60, 0x3f6f5d39, v88
	v_dual_add_f32 v89, v89, v90 :: v_dual_fmac_f32 v68, 0xbf52af12, v60
	s_delay_alu instid0(VALU_DEP_2) | instskip(NEXT) | instid1(VALU_DEP_2)
	v_dual_fmac_f32 v88, 0xbf6f5d39, v60 :: v_dual_add_f32 v81, v81, v91
	v_dual_mul_f32 v91, 0xbf788fa5, v61 :: v_dual_add_f32 v68, v68, v82
	v_fma_f32 v69, 0xbeb58ec6, v102, -v69
	s_delay_alu instid0(VALU_DEP_1) | instskip(NEXT) | instid1(VALU_DEP_1)
	v_dual_mul_f32 v82, 0xbe750f2a, v100 :: v_dual_add_f32 v69, v69, v83
	v_dual_fmamk_f32 v90, v102, 0xbf788fa5, v82 :: v_dual_add_f32 v83, v88, v84
	v_fma_f32 v82, 0xbf788fa5, v102, -v82
	s_delay_alu instid0(VALU_DEP_2) | instskip(SKIP_1) | instid1(VALU_DEP_3)
	v_add_f32_e32 v88, v90, v92
	v_fmamk_f32 v90, v60, 0x3e750f2a, v91
	v_dual_fmac_f32 v91, 0xbe750f2a, v60 :: v_dual_add_f32 v82, v82, v85
	s_delay_alu instid0(VALU_DEP_1) | instskip(SKIP_4) | instid1(VALU_DEP_4)
	v_dual_add_f32 v90, v90, v93 :: v_dual_add_f32 v85, v91, v86
	v_mul_f32_e32 v91, 0x3f7e222b, v100
	v_fmamk_f32 v86, v60, 0xbf29c268, v101
	v_fmac_f32_e32 v101, 0x3f29c268, v60
	v_mul_f32_e32 v84, 0x3f29c268, v100
	v_fmamk_f32 v93, v102, 0x3df6dbef, v91
	v_fma_f32 v91, 0x3df6dbef, v102, -v91
	s_delay_alu instid0(VALU_DEP_3) | instskip(SKIP_1) | instid1(VALU_DEP_4)
	v_dual_add_f32 v37, v101, v37 :: v_dual_fmamk_f32 v92, v102, 0xbf3f9e67, v84
	v_fma_f32 v84, 0xbf3f9e67, v102, -v84
	v_add_f32_e32 v93, v93, v97
	s_delay_alu instid0(VALU_DEP_4) | instskip(NEXT) | instid1(VALU_DEP_4)
	v_add_f32_e32 v91, v91, v95
	v_dual_sub_f32 v95, v65, v59 :: v_dual_add_f32 v36, v92, v36
	v_mul_f32_e32 v92, 0x3df6dbef, v61
	v_add_f32_e32 v84, v84, v87
	s_delay_alu instid0(VALU_DEP_2) | instskip(SKIP_2) | instid1(VALU_DEP_2)
	v_fmamk_f32 v87, v60, 0xbf7e222b, v92
	v_fmac_f32_e32 v92, 0x3f7e222b, v60
	v_mul_f32_e32 v61, 0x3f62ad3f, v61
	v_dual_add_f32 v87, v87, v98 :: v_dual_add_f32 v92, v92, v96
	v_add_f32_e32 v86, v86, v94
	v_mul_f32_e32 v94, 0x3eedf032, v100
	v_add_f32_e32 v98, v58, v64
	s_delay_alu instid0(VALU_DEP_2) | instskip(NEXT) | instid1(VALU_DEP_1)
	v_dual_sub_f32 v58, v64, v58 :: v_dual_fmamk_f32 v97, v102, 0x3f62ad3f, v94
	v_dual_add_f32 v96, v97, v99 :: v_dual_fmamk_f32 v97, v60, 0xbeedf032, v61
	v_mul_f32_e32 v99, 0xbf7e222b, v95
	v_add_f32_e32 v59, v59, v65
	v_fmac_f32_e32 v61, 0x3eedf032, v60
	v_fma_f32 v65, 0x3f62ad3f, v102, -v94
	s_delay_alu instid0(VALU_DEP_4) | instskip(NEXT) | instid1(VALU_DEP_1)
	v_fmamk_f32 v60, v98, 0x3df6dbef, v99
	v_add_f32_e32 v60, v60, v62
	s_delay_alu instid0(VALU_DEP_4) | instskip(SKIP_2) | instid1(VALU_DEP_3)
	v_dual_mul_f32 v64, 0x3df6dbef, v59 :: v_dual_add_f32 v61, v61, v66
	v_fma_f32 v66, 0x3df6dbef, v98, -v99
	v_add_f32_e32 v79, v97, v79
	v_dual_add_f32 v63, v65, v63 :: v_dual_fmamk_f32 v62, v58, 0x3f7e222b, v64
	v_fmac_f32_e32 v64, 0xbf7e222b, v58
	s_delay_alu instid0(VALU_DEP_4) | instskip(SKIP_1) | instid1(VALU_DEP_4)
	v_dual_mul_f32 v65, 0xbe750f2a, v95 :: v_dual_add_f32 v66, v66, v80
	v_mul_f32_e32 v94, 0xbf788fa5, v59
	v_add_f32_e32 v62, v62, v67
	v_mul_f32_e32 v80, 0x3f6f5d39, v95
	s_delay_alu instid0(VALU_DEP_4) | instskip(SKIP_2) | instid1(VALU_DEP_3)
	v_dual_fmamk_f32 v67, v98, 0xbf788fa5, v65 :: v_dual_add_f32 v64, v64, v68
	v_fma_f32 v65, 0xbf788fa5, v98, -v65
	v_fmamk_f32 v68, v58, 0x3e750f2a, v94
	v_dual_fmac_f32 v94, 0xbe750f2a, v58 :: v_dual_add_f32 v67, v67, v89
	v_mul_f32_e32 v89, 0xbeb58ec6, v59
	s_delay_alu instid0(VALU_DEP_4) | instskip(NEXT) | instid1(VALU_DEP_4)
	v_add_f32_e32 v65, v65, v69
	v_dual_add_f32 v68, v68, v81 :: v_dual_fmamk_f32 v81, v98, 0xbeb58ec6, v80
	v_mul_f32_e32 v97, 0x3f62ad3f, v59
	s_delay_alu instid0(VALU_DEP_2) | instskip(SKIP_2) | instid1(VALU_DEP_1)
	v_dual_add_f32 v81, v81, v88 :: v_dual_fmamk_f32 v88, v58, 0xbf6f5d39, v89
	v_add_f32_e32 v69, v94, v83
	v_fma_f32 v80, 0xbeb58ec6, v98, -v80
	v_dual_mul_f32 v83, 0x3eedf032, v95 :: v_dual_add_f32 v80, v80, v82
	s_delay_alu instid0(VALU_DEP_1) | instskip(SKIP_2) | instid1(VALU_DEP_3)
	v_fmamk_f32 v94, v98, 0x3f62ad3f, v83
	v_fmac_f32_e32 v89, 0x3f6f5d39, v58
	v_fma_f32 v83, 0x3f62ad3f, v98, -v83
	v_add_f32_e32 v36, v94, v36
	s_delay_alu instid0(VALU_DEP_3) | instskip(SKIP_3) | instid1(VALU_DEP_3)
	v_dual_add_f32 v82, v89, v85 :: v_dual_fmamk_f32 v85, v58, 0xbeedf032, v97
	v_mul_f32_e32 v89, 0xbf52af12, v95
	v_fmac_f32_e32 v97, 0x3eedf032, v58
	v_dual_add_f32 v83, v83, v84 :: v_dual_mul_f32 v94, 0xbf29c268, v95
	v_dual_add_f32 v85, v85, v86 :: v_dual_fmamk_f32 v86, v98, 0x3f116cb1, v89
	v_add_f32_e32 v88, v88, v90
	s_delay_alu instid0(VALU_DEP_4) | instskip(NEXT) | instid1(VALU_DEP_3)
	v_dual_mul_f32 v90, 0x3f116cb1, v59 :: v_dual_add_f32 v37, v97, v37
	v_add_f32_e32 v86, v86, v93
	v_fma_f32 v89, 0x3f116cb1, v98, -v89
	s_delay_alu instid0(VALU_DEP_3) | instskip(SKIP_2) | instid1(VALU_DEP_4)
	v_fmamk_f32 v84, v58, 0x3f52af12, v90
	v_dual_fmac_f32 v90, 0xbf52af12, v58 :: v_dual_add_f32 v93, v50, v52
	v_mul_f32_e32 v59, 0xbf3f9e67, v59
	v_add_f32_e32 v89, v89, v91
	s_delay_alu instid0(VALU_DEP_3) | instskip(SKIP_3) | instid1(VALU_DEP_4)
	v_dual_sub_f32 v91, v53, v51 :: v_dual_add_f32 v90, v90, v92
	v_dual_add_f32 v84, v84, v87 :: v_dual_fmamk_f32 v87, v98, 0xbf3f9e67, v94
	v_sub_f32_e32 v50, v52, v50
	v_dual_fmamk_f32 v92, v58, 0x3f29c268, v59 :: v_dual_add_f32 v51, v51, v53
	v_mul_f32_e32 v95, 0xbf6f5d39, v91
	s_delay_alu instid0(VALU_DEP_4) | instskip(SKIP_4) | instid1(VALU_DEP_4)
	v_add_f32_e32 v87, v87, v96
	v_fma_f32 v53, 0xbf3f9e67, v98, -v94
	v_fmac_f32_e32 v59, 0xbf29c268, v58
	v_mul_f32_e32 v58, 0xbeb58ec6, v51
	v_dual_fmamk_f32 v52, v93, 0xbeb58ec6, v95 :: v_dual_add_f32 v79, v92, v79
	v_add_f32_e32 v53, v53, v63
	v_mul_f32_e32 v94, 0x3df6dbef, v51
	s_delay_alu instid0(VALU_DEP_3) | instskip(SKIP_4) | instid1(VALU_DEP_4)
	v_add_f32_e32 v52, v52, v60
	v_fmamk_f32 v60, v50, 0x3f6f5d39, v58
	v_fmac_f32_e32 v58, 0xbf6f5d39, v50
	v_fma_f32 v63, 0xbeb58ec6, v93, -v95
	v_mul_f32_e32 v92, 0xbf3f9e67, v51
	v_add_f32_e32 v60, v60, v62
	s_delay_alu instid0(VALU_DEP_3)
	v_dual_add_f32 v58, v58, v64 :: v_dual_add_f32 v63, v63, v66
	v_add_f32_e32 v59, v59, v61
	v_mul_f32_e32 v61, 0x3f29c268, v91
	v_fmamk_f32 v64, v50, 0xbf29c268, v92
	v_mul_f32_e32 v66, 0x3eedf032, v91
	v_fmac_f32_e32 v92, 0x3f29c268, v50
	s_delay_alu instid0(VALU_DEP_4) | instskip(SKIP_1) | instid1(VALU_DEP_1)
	v_fmamk_f32 v62, v93, 0xbf3f9e67, v61
	v_fma_f32 v61, 0xbf3f9e67, v93, -v61
	v_add_f32_e32 v61, v61, v65
	s_delay_alu instid0(VALU_DEP_3) | instskip(SKIP_2) | instid1(VALU_DEP_2)
	v_dual_add_f32 v65, v92, v69 :: v_dual_add_f32 v62, v62, v67
	v_fmamk_f32 v67, v93, 0x3f62ad3f, v66
	v_mul_f32_e32 v69, 0xbf7e222b, v91
	v_dual_add_f32 v67, v67, v81 :: v_dual_add_f32 v64, v64, v68
	v_mul_f32_e32 v68, 0x3f62ad3f, v51
	s_delay_alu instid0(VALU_DEP_3) | instskip(SKIP_1) | instid1(VALU_DEP_3)
	v_fmamk_f32 v92, v93, 0x3df6dbef, v69
	v_fma_f32 v69, 0x3df6dbef, v93, -v69
	v_fmamk_f32 v81, v50, 0xbeedf032, v68
	s_delay_alu instid0(VALU_DEP_2) | instskip(NEXT) | instid1(VALU_DEP_2)
	v_add_f32_e32 v69, v69, v83
	v_add_f32_e32 v81, v81, v88
	v_fma_f32 v66, 0x3f62ad3f, v93, -v66
	v_mul_f32_e32 v88, 0xbf788fa5, v51
	s_delay_alu instid0(VALU_DEP_2) | instskip(SKIP_2) | instid1(VALU_DEP_2)
	v_dual_mul_f32 v51, 0x3f116cb1, v51 :: v_dual_add_f32 v66, v66, v80
	v_fmamk_f32 v80, v50, 0x3f7e222b, v94
	v_fmac_f32_e32 v94, 0xbf7e222b, v50
	v_dual_fmamk_f32 v83, v50, 0xbe750f2a, v88 :: v_dual_add_f32 v80, v80, v85
	s_delay_alu instid0(VALU_DEP_2) | instskip(NEXT) | instid1(VALU_DEP_1)
	v_dual_add_f32 v37, v94, v37 :: v_dual_fmac_f32 v68, 0x3eedf032, v50
	v_dual_add_f32 v83, v83, v84 :: v_dual_add_f32 v68, v68, v82
	v_mul_f32_e32 v82, 0x3e750f2a, v91
	v_mul_f32_e32 v91, 0x3f52af12, v91
	s_delay_alu instid0(VALU_DEP_2) | instskip(SKIP_1) | instid1(VALU_DEP_3)
	v_fmamk_f32 v85, v93, 0xbf788fa5, v82
	v_fma_f32 v82, 0xbf788fa5, v93, -v82
	v_fmamk_f32 v84, v93, 0x3f116cb1, v91
	s_delay_alu instid0(VALU_DEP_2)
	v_dual_add_f32 v85, v85, v86 :: v_dual_add_f32 v82, v82, v89
	v_add_f32_e32 v89, v48, v54
	v_add_f32_e32 v36, v92, v36
	v_sub_f32_e32 v86, v55, v49
	v_dual_add_f32 v84, v84, v87 :: v_dual_fmamk_f32 v87, v50, 0xbf52af12, v51
	v_fmac_f32_e32 v51, 0x3f52af12, v50
	v_dual_fmac_f32 v88, 0x3e750f2a, v50 :: v_dual_add_f32 v49, v49, v55
	v_fma_f32 v55, 0x3f116cb1, v93, -v91
	s_delay_alu instid0(VALU_DEP_3) | instskip(NEXT) | instid1(VALU_DEP_3)
	v_dual_sub_f32 v48, v54, v48 :: v_dual_add_f32 v51, v51, v59
	v_add_f32_e32 v88, v88, v90
	v_mul_f32_e32 v90, 0xbf29c268, v86
	v_dual_mul_f32 v54, 0xbf3f9e67, v49 :: v_dual_add_f32 v79, v87, v79
	v_add_f32_e32 v53, v55, v53
	v_mul_f32_e32 v55, 0x3f7e222b, v86
	s_delay_alu instid0(VALU_DEP_4) | instskip(SKIP_1) | instid1(VALU_DEP_2)
	v_fma_f32 v59, 0xbf3f9e67, v89, -v90
	v_mul_f32_e32 v87, 0x3df6dbef, v49
	v_dual_add_f32 v63, v59, v63 :: v_dual_fmamk_f32 v50, v89, 0xbf3f9e67, v90
	v_mul_f32_e32 v59, 0xbf52af12, v86
	v_mul_f32_e32 v90, 0xbf788fa5, v49
	s_delay_alu instid0(VALU_DEP_3) | instskip(SKIP_2) | instid1(VALU_DEP_2)
	v_add_f32_e32 v50, v50, v52
	v_fmamk_f32 v52, v48, 0x3f29c268, v54
	v_fmac_f32_e32 v54, 0xbf29c268, v48
	v_add_f32_e32 v52, v52, v60
	v_fmamk_f32 v60, v89, 0x3df6dbef, v55
	s_delay_alu instid0(VALU_DEP_3) | instskip(SKIP_2) | instid1(VALU_DEP_4)
	v_add_f32_e32 v54, v54, v58
	v_fmamk_f32 v58, v48, 0xbf7e222b, v87
	v_fma_f32 v55, 0x3df6dbef, v89, -v55
	v_dual_fmac_f32 v87, 0x3f7e222b, v48 :: v_dual_add_f32 v60, v60, v62
	s_delay_alu instid0(VALU_DEP_3) | instskip(NEXT) | instid1(VALU_DEP_3)
	v_add_f32_e32 v62, v58, v64
	v_dual_fmamk_f32 v58, v89, 0x3f116cb1, v59 :: v_dual_add_f32 v55, v55, v61
	s_delay_alu instid0(VALU_DEP_3) | instskip(SKIP_2) | instid1(VALU_DEP_4)
	v_add_f32_e32 v61, v87, v65
	v_mul_f32_e32 v65, 0x3e750f2a, v86
	v_fma_f32 v59, 0x3f116cb1, v89, -v59
	v_add_f32_e32 v67, v58, v67
	s_delay_alu instid0(VALU_DEP_2) | instskip(SKIP_2) | instid1(VALU_DEP_2)
	v_dual_fmamk_f32 v87, v89, 0xbf788fa5, v65 :: v_dual_add_f32 v66, v59, v66
	v_fma_f32 v59, 0xbf788fa5, v89, -v65
	v_mul_f32_e32 v65, 0x3f62ad3f, v49
	v_add_f32_e32 v69, v59, v69
	s_delay_alu instid0(VALU_DEP_2) | instskip(SKIP_3) | instid1(VALU_DEP_4)
	v_fmamk_f32 v59, v48, 0xbeedf032, v65
	v_fmac_f32_e32 v65, 0x3eedf032, v48
	v_mul_f32_e32 v64, 0x3f116cb1, v49
	v_mul_f32_e32 v49, 0xbeb58ec6, v49
	v_add_f32_e32 v83, v59, v83
	s_delay_alu instid0(VALU_DEP_3) | instskip(NEXT) | instid1(VALU_DEP_1)
	v_dual_add_f32 v65, v65, v88 :: v_dual_fmamk_f32 v58, v48, 0x3f52af12, v64
	v_dual_fmac_f32 v64, 0xbf52af12, v48 :: v_dual_add_f32 v81, v58, v81
	s_delay_alu instid0(VALU_DEP_1) | instskip(SKIP_3) | instid1(VALU_DEP_2)
	v_add_f32_e32 v64, v64, v68
	v_add_f32_e32 v68, v87, v36
	v_fmamk_f32 v36, v48, 0xbe750f2a, v90
	v_mul_f32_e32 v58, 0x3eedf032, v86
	v_add_f32_e32 v80, v36, v80
	s_delay_alu instid0(VALU_DEP_2) | instskip(NEXT) | instid1(VALU_DEP_1)
	v_fmamk_f32 v36, v89, 0x3f62ad3f, v58
	v_add_f32_e32 v85, v36, v85
	v_fma_f32 v36, 0x3f62ad3f, v89, -v58
	s_delay_alu instid0(VALU_DEP_1) | instskip(SKIP_2) | instid1(VALU_DEP_2)
	v_add_f32_e32 v82, v36, v82
	v_fmamk_f32 v36, v48, 0x3f6f5d39, v49
	v_fmac_f32_e32 v49, 0xbf6f5d39, v48
	v_dual_add_f32 v79, v36, v79 :: v_dual_fmac_f32 v90, 0x3e750f2a, v48
	s_delay_alu instid0(VALU_DEP_1) | instskip(SKIP_1) | instid1(VALU_DEP_1)
	v_add_f32_e32 v87, v90, v37
	v_dual_mul_f32 v37, 0xbf6f5d39, v86 :: v_dual_add_f32 v90, v47, v45
	v_fmamk_f32 v58, v89, 0xbeb58ec6, v37
	v_fma_f32 v37, 0xbeb58ec6, v89, -v37
	v_dual_sub_f32 v89, v44, v46 :: v_dual_sub_f32 v86, v45, v47
	s_delay_alu instid0(VALU_DEP_4) | instskip(SKIP_1) | instid1(VALU_DEP_4)
	v_mul_f32_e32 v45, 0xbf788fa5, v90
	v_dual_mul_f32 v47, 0x3f62ad3f, v90 :: v_dual_add_f32 v88, v46, v44
	v_add_f32_e32 v91, v37, v53
	v_add_f32_e32 v92, v49, v51
	s_delay_alu instid0(VALU_DEP_4)
	v_fmamk_f32 v36, v89, 0x3e750f2a, v45
	v_fmac_f32_e32 v45, 0xbe750f2a, v89
	v_mul_f32_e32 v59, 0xbe750f2a, v86
	v_mul_f32_e32 v46, 0x3eedf032, v86
	;; [unrolled: 1-line block ×4, first 2 shown]
	s_delay_alu instid0(VALU_DEP_4) | instskip(SKIP_1) | instid1(VALU_DEP_2)
	v_fma_f32 v37, 0xbf788fa5, v88, -v59
	v_fmamk_f32 v44, v88, 0xbf788fa5, v59
	v_dual_add_f32 v59, v36, v52 :: v_dual_add_f32 v36, v37, v63
	v_add_f32_e32 v37, v45, v54
	v_fmamk_f32 v45, v89, 0xbeedf032, v47
	v_fmac_f32_e32 v47, 0x3eedf032, v89
	v_fmamk_f32 v49, v88, 0xbf3f9e67, v48
	v_mul_f32_e32 v53, 0xbeb58ec6, v90
	v_mul_f32_e32 v52, 0x3f116cb1, v90
	v_add_f32_e32 v45, v45, v62
	v_dual_add_f32 v63, v47, v61 :: v_dual_add_f32 v84, v58, v84
	v_add_f32_e32 v58, v44, v50
	v_fmamk_f32 v44, v88, 0x3f62ad3f, v46
	v_fma_f32 v46, 0x3f62ad3f, v88, -v46
	s_delay_alu instid0(VALU_DEP_1) | instskip(SKIP_2) | instid1(VALU_DEP_1)
	v_add_f32_e32 v62, v46, v55
	v_dual_add_f32 v46, v49, v67 :: v_dual_fmamk_f32 v49, v88, 0x3f116cb1, v51
	v_fma_f32 v51, 0x3f116cb1, v88, -v51
	v_dual_mul_f32 v67, 0x3df6dbef, v90 :: v_dual_add_f32 v54, v51, v69
	v_fmamk_f32 v51, v89, 0x3f6f5d39, v53
	v_fmac_f32_e32 v53, 0xbf6f5d39, v89
	s_delay_alu instid0(VALU_DEP_2) | instskip(NEXT) | instid1(VALU_DEP_2)
	v_add_f32_e32 v51, v51, v83
	v_add_f32_e32 v53, v53, v65
	v_fma_f32 v48, 0xbf3f9e67, v88, -v48
	v_add_f32_e32 v44, v44, v60
	s_delay_alu instid0(VALU_DEP_2)
	v_add_f32_e32 v60, v48, v66
	v_add_f32_e32 v48, v49, v68
	v_fmamk_f32 v68, v89, 0xbf7e222b, v67
	v_fmac_f32_e32 v67, 0x3f7e222b, v89
	v_mul_f32_e32 v50, 0xbf3f9e67, v90
	v_fmamk_f32 v49, v89, 0xbf52af12, v52
	s_delay_alu instid0(VALU_DEP_4) | instskip(NEXT) | instid1(VALU_DEP_4)
	v_dual_fmac_f32 v52, 0x3f52af12, v89 :: v_dual_add_f32 v65, v68, v79
	v_add_f32_e32 v67, v67, v92
	s_delay_alu instid0(VALU_DEP_4) | instskip(NEXT) | instid1(VALU_DEP_3)
	v_fmamk_f32 v47, v89, 0x3f29c268, v50
	v_dual_fmac_f32 v50, 0xbf29c268, v89 :: v_dual_add_f32 v55, v52, v87
	v_add_f32_e32 v49, v49, v80
	s_delay_alu instid0(VALU_DEP_3) | instskip(NEXT) | instid1(VALU_DEP_3)
	v_add_f32_e32 v47, v47, v81
	v_dual_add_f32 v61, v50, v64 :: v_dual_mul_f32 v50, 0xbf6f5d39, v86
	s_delay_alu instid0(VALU_DEP_1) | instskip(SKIP_1) | instid1(VALU_DEP_2)
	v_fmamk_f32 v64, v88, 0xbeb58ec6, v50
	v_fma_f32 v52, 0xbeb58ec6, v88, -v50
	v_add_f32_e32 v50, v64, v85
	v_mul_f32_e32 v64, 0x3f7e222b, v86
	s_delay_alu instid0(VALU_DEP_3) | instskip(NEXT) | instid1(VALU_DEP_2)
	v_add_f32_e32 v52, v52, v82
	v_fmamk_f32 v66, v88, 0x3df6dbef, v64
	v_fma_f32 v69, 0x3df6dbef, v88, -v64
	s_delay_alu instid0(VALU_DEP_2) | instskip(NEXT) | instid1(VALU_DEP_2)
	v_add_f32_e32 v64, v66, v84
	v_add_f32_e32 v66, v69, v91
	s_and_saveexec_b32 s1, vcc_lo
	s_cbranch_execz .LBB0_17
; %bb.16:
	v_and_b32_e32 v68, 0xffff, v77
	s_delay_alu instid0(VALU_DEP_1)
	v_lshlrev_b32_e32 v68, 3, v68
	ds_store_2addr_b64 v68, v[56:57], v[58:59] offset1:1
	ds_store_2addr_b64 v68, v[44:45], v[46:47] offset0:2 offset1:3
	ds_store_2addr_b64 v68, v[48:49], v[50:51] offset0:4 offset1:5
	;; [unrolled: 1-line block ×5, first 2 shown]
	ds_store_b64 v68, v[36:37] offset:96
.LBB0_17:
	s_wait_alu 0xfffe
	s_or_b32 exec_lo, exec_lo, s1
	global_wb scope:SCOPE_SE
	s_wait_dscnt 0x0
	s_barrier_signal -1
	s_barrier_wait -1
	global_inv scope:SCOPE_SE
	s_and_saveexec_b32 s1, s0
	s_cbranch_execz .LBB0_19
; %bb.18:
	v_add_nc_u32_e32 v36, 0x800, v74
	v_add_nc_u32_e32 v37, 0x1000, v74
	;; [unrolled: 1-line block ×3, first 2 shown]
	ds_load_2addr_b64 v[56:59], v74 offset1:65
	ds_load_2addr_b64 v[44:47], v74 offset0:130 offset1:195
	ds_load_2addr_b64 v[48:51], v36 offset0:4 offset1:69
	;; [unrolled: 1-line block ×7, first 2 shown]
.LBB0_19:
	s_wait_alu 0xfffe
	s_or_b32 exec_lo, exec_lo, s1
	global_wb scope:SCOPE_SE
	s_wait_dscnt 0x0
	s_barrier_signal -1
	s_barrier_wait -1
	global_inv scope:SCOPE_SE
	s_and_saveexec_b32 s1, s0
	s_cbranch_execz .LBB0_21
; %bb.20:
	v_mul_f32_e32 v81, v7, v49
	v_mul_f32_e32 v82, v19, v37
	;; [unrolled: 1-line block ×4, first 2 shown]
	s_delay_alu instid0(VALU_DEP_4) | instskip(NEXT) | instid1(VALU_DEP_4)
	v_fmac_f32_e32 v81, v6, v48
	v_fmac_f32_e32 v82, v18, v36
	v_mul_f32_e32 v69, v23, v60
	v_fmac_f32_e32 v79, v26, v40
	s_delay_alu instid0(VALU_DEP_3) | instskip(NEXT) | instid1(VALU_DEP_3)
	v_dual_mul_f32 v23, v23, v61 :: v_dual_sub_f32 v40, v81, v82
	v_fma_f32 v69, v22, v61, -v69
	v_mul_f32_e32 v80, v3, v52
	s_delay_alu instid0(VALU_DEP_3) | instskip(SKIP_2) | instid1(VALU_DEP_4)
	v_dual_fmac_f32 v23, v22, v60 :: v_dual_mul_f32 v22, v17, v62
	v_mul_f32_e32 v60, v9, v58
	v_mul_f32_e32 v9, v9, v59
	v_fma_f32 v80, v2, v53, -v80
	v_mul_f32_e32 v77, v15, v65
	v_fma_f32 v22, v16, v63, -v22
	v_fma_f32 v60, v8, v59, -v60
	s_delay_alu instid0(VALU_DEP_4) | instskip(NEXT) | instid1(VALU_DEP_4)
	v_dual_fmac_f32 v9, v8, v58 :: v_dual_sub_f32 v80, v57, v80
	v_fmac_f32_e32 v77, v14, v64
	v_mul_f32_e32 v68, v11, v44
	v_mul_f32_e32 v11, v11, v45
	;; [unrolled: 1-line block ×3, first 2 shown]
	s_delay_alu instid0(VALU_DEP_4) | instskip(NEXT) | instid1(VALU_DEP_4)
	v_sub_f32_e32 v79, v77, v79
	v_fma_f32 v68, v10, v45, -v68
	s_delay_alu instid0(VALU_DEP_4) | instskip(SKIP_2) | instid1(VALU_DEP_4)
	v_dual_fmac_f32 v11, v10, v44 :: v_dual_mul_f32 v10, v5, v46
	v_mul_f32_e32 v45, v72, v43
	v_mul_f32_e32 v5, v5, v47
	v_sub_f32_e32 v69, v68, v69
	s_delay_alu instid0(VALU_DEP_4)
	v_fma_f32 v10, v4, v47, -v10
	v_mul_f32_e32 v15, v15, v64
	v_fmac_f32_e32 v45, v71, v42
	v_mul_f32_e32 v42, v72, v42
	v_mul_f32_e32 v64, v13, v51
	v_sub_f32_e32 v22, v10, v22
	v_fma_f32 v14, v14, v65, -v15
	v_fma_f32 v15, v26, v41, -v27
	v_mul_f32_e32 v27, v1, v67
	v_mul_f32_e32 v1, v1, v66
	v_dual_fmac_f32 v64, v12, v50 :: v_dual_sub_f32 v83, v69, v79
	s_delay_alu instid0(VALU_DEP_4) | instskip(NEXT) | instid1(VALU_DEP_4)
	v_sub_f32_e32 v15, v14, v15
	v_fmac_f32_e32 v27, v0, v66
	s_delay_alu instid0(VALU_DEP_4) | instskip(SKIP_3) | instid1(VALU_DEP_3)
	v_fma_f32 v66, v0, v67, -v1
	v_fma_f32 v0, v71, v43, -v42
	v_dual_mul_f32 v1, v17, v63 :: v_dual_sub_f32 v26, v80, v40
	v_fma_f32 v10, v10, 2.0, -v22
	v_dual_sub_f32 v43, v66, v0 :: v_dual_mul_f32 v0, v13, v50
	v_mul_f32_e32 v13, v21, v55
	s_delay_alu instid0(VALU_DEP_4) | instskip(SKIP_1) | instid1(VALU_DEP_4)
	v_fmac_f32_e32 v1, v16, v62
	v_fma_f32 v14, v14, 2.0, -v15
	v_fma_f32 v0, v12, v51, -v0
	s_delay_alu instid0(VALU_DEP_4) | instskip(SKIP_1) | instid1(VALU_DEP_2)
	v_fmac_f32_e32 v13, v20, v54
	v_mul_f32_e32 v61, v21, v54
	v_sub_f32_e32 v12, v9, v13
	s_delay_alu instid0(VALU_DEP_2) | instskip(SKIP_1) | instid1(VALU_DEP_3)
	v_fma_f32 v61, v20, v55, -v61
	v_fma_f32 v13, v57, 2.0, -v80
	v_fma_f32 v9, v9, 2.0, -v12
	v_fmac_f32_e32 v5, v4, v46
	v_fmamk_f32 v41, v83, 0x3f3504f3, v26
	v_dual_sub_f32 v61, v60, v61 :: v_dual_mul_f32 v4, v25, v38
	s_delay_alu instid0(VALU_DEP_3) | instskip(SKIP_1) | instid1(VALU_DEP_3)
	v_sub_f32_e32 v16, v5, v1
	v_mul_f32_e32 v65, v25, v39
	v_fma_f32 v1, v24, v39, -v4
	v_mul_f32_e32 v4, v7, v48
	v_mul_f32_e32 v7, v19, v36
	s_delay_alu instid0(VALU_DEP_4) | instskip(NEXT) | instid1(VALU_DEP_4)
	v_fmac_f32_e32 v65, v24, v38
	v_sub_f32_e32 v8, v0, v1
	s_delay_alu instid0(VALU_DEP_4) | instskip(NEXT) | instid1(VALU_DEP_4)
	v_fma_f32 v4, v6, v49, -v4
	v_fma_f32 v1, v18, v37, -v7
	s_delay_alu instid0(VALU_DEP_4) | instskip(SKIP_1) | instid1(VALU_DEP_2)
	v_dual_sub_f32 v65, v64, v65 :: v_dual_add_f32 v6, v43, v16
	v_fma_f32 v49, v80, 2.0, -v26
	v_dual_sub_f32 v42, v61, v65 :: v_dual_sub_f32 v23, v11, v23
	s_delay_alu instid0(VALU_DEP_1) | instskip(SKIP_3) | instid1(VALU_DEP_3)
	v_fma_f32 v25, v11, 2.0, -v23
	v_fma_f32 v11, v68, 2.0, -v69
	v_add_f32_e32 v44, v15, v23
	v_fma_f32 v15, v69, 2.0, -v83
	v_sub_f32_e32 v14, v11, v14
	s_delay_alu instid0(VALU_DEP_3) | instskip(NEXT) | instid1(VALU_DEP_2)
	v_fma_f32 v23, v23, 2.0, -v44
	v_fma_f32 v11, v11, 2.0, -v14
	v_dual_fmac_f32 v3, v2, v52 :: v_dual_sub_f32 v2, v4, v1
	v_sub_f32_e32 v45, v27, v45
	s_delay_alu instid0(VALU_DEP_2) | instskip(SKIP_1) | instid1(VALU_DEP_2)
	v_sub_f32_e32 v7, v56, v3
	v_fma_f32 v3, v77, 2.0, -v79
	v_add_f32_e32 v21, v2, v7
	v_fma_f32 v48, v56, 2.0, -v7
	v_fma_f32 v2, v4, 2.0, -v2
	;; [unrolled: 1-line block ×3, first 2 shown]
	v_sub_f32_e32 v37, v25, v3
	v_fma_f32 v50, v7, 2.0, -v21
	v_fma_f32 v7, v81, 2.0, -v40
	v_fmamk_f32 v24, v44, 0x3f3504f3, v21
	v_fmamk_f32 v40, v15, 0xbf3504f3, v49
	s_delay_alu instid0(VALU_DEP_3) | instskip(NEXT) | instid1(VALU_DEP_3)
	v_dual_fmamk_f32 v53, v23, 0xbf3504f3, v50 :: v_dual_sub_f32 v54, v48, v7
	v_fmac_f32_e32 v24, 0x3f3504f3, v83
	v_fma_f32 v36, v60, 2.0, -v61
	v_sub_f32_e32 v17, v22, v45
	s_delay_alu instid0(VALU_DEP_4)
	v_fmac_f32_e32 v53, 0x3f3504f3, v15
	v_add_f32_e32 v57, v14, v54
	v_add_f32_e32 v19, v8, v12
	v_sub_f32_e32 v38, v36, v4
	v_fmamk_f32 v18, v17, 0x3f3504f3, v42
	v_fmac_f32_e32 v40, 0xbf3504f3, v23
	s_delay_alu instid0(VALU_DEP_4) | instskip(NEXT) | instid1(VALU_DEP_4)
	v_fmamk_f32 v20, v6, 0x3f3504f3, v19
	v_fma_f32 v36, v36, 2.0, -v38
	s_delay_alu instid0(VALU_DEP_4) | instskip(SKIP_1) | instid1(VALU_DEP_4)
	v_fmac_f32_e32 v18, 0xbf3504f3, v6
	v_fma_f32 v6, v16, 2.0, -v6
	v_fmac_f32_e32 v20, 0x3f3504f3, v17
	v_fma_f32 v17, v22, 2.0, -v17
	s_delay_alu instid0(VALU_DEP_2) | instskip(NEXT) | instid1(VALU_DEP_1)
	v_fmamk_f32 v0, v20, 0x3f6c835e, v24
	v_fmac_f32_e32 v0, 0x3ec3ef15, v18
	v_fma_f32 v3, v64, 2.0, -v65
	s_delay_alu instid0(VALU_DEP_1) | instskip(SKIP_3) | instid1(VALU_DEP_4)
	v_sub_f32_e32 v46, v9, v3
	v_fma_f32 v8, v5, 2.0, -v16
	v_fma_f32 v5, v27, 2.0, -v45
	v_sub_f32_e32 v27, v13, v2
	v_fma_f32 v56, v9, 2.0, -v46
	s_delay_alu instid0(VALU_DEP_3) | instskip(SKIP_1) | instid1(VALU_DEP_2)
	v_sub_f32_e32 v4, v8, v5
	v_fma_f32 v2, v66, 2.0, -v43
	v_sub_f32_e32 v43, v38, v4
	s_delay_alu instid0(VALU_DEP_2) | instskip(SKIP_2) | instid1(VALU_DEP_2)
	v_sub_f32_e32 v45, v10, v2
	v_fma_f32 v4, v8, 2.0, -v4
	v_fma_f32 v2, v24, 2.0, -v0
	v_dual_add_f32 v47, v45, v46 :: v_dual_sub_f32 v58, v56, v4
	v_fma_f32 v10, v10, 2.0, -v45
	v_fmac_f32_e32 v41, 0xbf3504f3, v44
	v_fma_f32 v44, v61, 2.0, -v42
	s_delay_alu instid0(VALU_DEP_4)
	v_fmamk_f32 v4, v47, 0x3f3504f3, v57
	v_fma_f32 v22, v12, 2.0, -v19
	v_sub_f32_e32 v10, v36, v10
	v_fma_f32 v23, v26, 2.0, -v41
	v_fmamk_f32 v51, v17, 0xbf3504f3, v44
	v_fma_f32 v16, v19, 2.0, -v20
	v_fmamk_f32 v52, v6, 0xbf3504f3, v22
	v_fmac_f32_e32 v4, 0x3f3504f3, v43
	v_fma_f32 v55, v13, 2.0, -v27
	v_fmac_f32_e32 v51, 0xbf3504f3, v6
	v_fma_f32 v26, v48, 2.0, -v54
	v_fmac_f32_e32 v52, 0x3f3504f3, v17
	s_delay_alu instid0(VALU_DEP_4) | instskip(NEXT) | instid1(VALU_DEP_2)
	v_sub_f32_e32 v14, v55, v11
	v_dual_fmamk_f32 v7, v51, 0x3ec3ef15, v40 :: v_dual_fmamk_f32 v6, v52, 0x3ec3ef15, v53
	v_fmamk_f32 v1, v18, 0x3f6c835e, v41
	v_fma_f32 v18, v42, 2.0, -v18
	v_fma_f32 v22, v22, 2.0, -v52
	;; [unrolled: 1-line block ×3, first 2 shown]
	v_fmac_f32_e32 v6, 0x3f6c835e, v51
	v_fmac_f32_e32 v1, 0xbec3ef15, v20
	v_fmamk_f32 v17, v18, 0xbec3ef15, v23
	v_fma_f32 v20, v21, 2.0, -v24
	v_fmac_f32_e32 v7, 0xbf6c835e, v52
	v_sub_f32_e32 v9, v14, v58
	v_fma_f32 v12, v53, 2.0, -v6
	v_fmac_f32_e32 v17, 0xbf6c835e, v16
	v_fmamk_f32 v16, v16, 0xbec3ef15, v20
	v_fma_f32 v3, v41, 2.0, -v1
	v_fma_f32 v13, v40, 2.0, -v7
	;; [unrolled: 1-line block ×4, first 2 shown]
	v_fmac_f32_e32 v16, 0x3f6c835e, v18
	v_fma_f32 v8, v25, 2.0, -v37
	v_fma_f32 v25, v38, 2.0, -v43
	;; [unrolled: 1-line block ×3, first 2 shown]
	v_sub_f32_e32 v39, v27, v37
	v_fma_f32 v37, v49, 2.0, -v40
	v_sub_f32_e32 v41, v26, v8
	v_fma_f32 v14, v55, 2.0, -v14
	v_fma_f32 v20, v20, 2.0, -v16
	v_fma_f32 v24, v27, 2.0, -v39
	v_fma_f32 v27, v46, 2.0, -v47
	v_add_f32_e32 v8, v41, v10
	v_fma_f32 v10, v36, 2.0, -v10
	v_fma_f32 v40, v26, 2.0, -v41
	v_fmamk_f32 v19, v25, 0xbf3504f3, v24
	v_fmamk_f32 v18, v27, 0xbf3504f3, v42
	v_fma_f32 v26, v56, 2.0, -v58
	v_mul_u32_u24_e32 v36, 0xd0, v78
	s_delay_alu instid0(VALU_DEP_4) | instskip(SKIP_3) | instid1(VALU_DEP_4)
	v_fmac_f32_e32 v19, 0xbf3504f3, v27
	v_fma_f32 v27, v44, 2.0, -v51
	v_fmac_f32_e32 v18, 0x3f3504f3, v25
	v_sub_f32_e32 v26, v40, v26
	v_fma_f32 v23, v24, 2.0, -v19
	v_fmamk_f32 v24, v22, 0xbf6c835e, v38
	v_fmamk_f32 v5, v43, 0x3f3504f3, v39
	;; [unrolled: 1-line block ×3, first 2 shown]
	s_delay_alu instid0(VALU_DEP_3) | instskip(NEXT) | instid1(VALU_DEP_3)
	v_fmac_f32_e32 v24, 0x3ec3ef15, v27
	v_fmac_f32_e32 v5, 0xbf3504f3, v47
	s_delay_alu instid0(VALU_DEP_3)
	v_fmac_f32_e32 v25, 0xbec3ef15, v22
	v_sub_f32_e32 v27, v14, v10
	v_or_b32_e32 v10, v36, v76
	v_fma_f32 v36, v38, 2.0, -v24
	v_fma_f32 v11, v39, 2.0, -v5
	;; [unrolled: 1-line block ×5, first 2 shown]
	v_lshlrev_b32_e32 v40, 3, v10
	v_fma_f32 v22, v42, 2.0, -v18
	v_fma_f32 v14, v41, 2.0, -v8
	;; [unrolled: 1-line block ×3, first 2 shown]
	ds_store_2addr_b64 v40, v[38:39], v[36:37] offset1:13
	ds_store_2addr_b64 v40, v[22:23], v[20:21] offset0:26 offset1:39
	ds_store_2addr_b64 v40, v[14:15], v[12:13] offset0:52 offset1:65
	;; [unrolled: 1-line block ×7, first 2 shown]
.LBB0_21:
	s_wait_alu 0xfffe
	s_or_b32 exec_lo, exec_lo, s1
	global_wb scope:SCOPE_SE
	s_wait_dscnt 0x0
	s_barrier_signal -1
	s_barrier_wait -1
	global_inv scope:SCOPE_SE
	ds_load_2addr_b64 v[0:3], v74 offset1:208
	s_wait_dscnt 0x0
	v_dual_mul_f32 v11, v33, v3 :: v_dual_add_nc_u32 v10, 0xc00, v74
	ds_load_b64 v[8:9], v74 offset:6656
	ds_load_2addr_b64 v[4:7], v10 offset0:32 offset1:240
	v_mul_f32_e32 v12, v33, v2
	v_fmac_f32_e32 v11, v32, v2
	s_wait_dscnt 0x1
	v_mul_f32_e32 v13, v31, v9
	v_mul_f32_e32 v14, v31, v8
	v_fma_f32 v12, v32, v3, -v12
	s_wait_dscnt 0x0
	v_dual_mul_f32 v3, v35, v5 :: v_dual_mul_f32 v16, v29, v6
	v_dual_mul_f32 v2, v35, v4 :: v_dual_mul_f32 v15, v29, v7
	v_fmac_f32_e32 v13, v30, v8
	v_fma_f32 v9, v30, v9, -v14
	s_delay_alu instid0(VALU_DEP_4) | instskip(NEXT) | instid1(VALU_DEP_4)
	v_fma_f32 v16, v28, v7, -v16
	v_fma_f32 v14, v34, v5, -v2
	v_dual_add_f32 v2, v0, v11 :: v_dual_fmac_f32 v3, v34, v4
	v_dual_add_f32 v4, v11, v13 :: v_dual_fmac_f32 v15, v28, v6
	v_dual_add_f32 v5, v1, v12 :: v_dual_add_f32 v18, v12, v9
	s_delay_alu instid0(VALU_DEP_3) | instskip(NEXT) | instid1(VALU_DEP_3)
	v_dual_add_f32 v6, v2, v3 :: v_dual_sub_f32 v7, v12, v9
	v_add_f32_e32 v8, v3, v15
	v_sub_f32_e32 v17, v11, v13
	v_dual_sub_f32 v19, v14, v16 :: v_dual_sub_f32 v20, v11, v3
	v_fma_f32 v2, -0.5, v4, v0
	v_add_f32_e32 v23, v5, v14
	v_fma_f32 v4, -0.5, v8, v0
	v_add_f32_e32 v5, v14, v16
	v_add_f32_e32 v8, v6, v15
	v_dual_sub_f32 v21, v13, v15 :: v_dual_sub_f32 v22, v15, v13
	v_sub_f32_e32 v11, v3, v11
	v_fmamk_f32 v0, v19, 0x3f737871, v2
	v_fmamk_f32 v6, v7, 0xbf737871, v4
	s_delay_alu instid0(VALU_DEP_4)
	v_add_f32_e32 v20, v20, v21
	v_fmac_f32_e32 v2, 0xbf737871, v19
	v_fma_f32 v5, -0.5, v5, v1
	v_dual_add_f32 v8, v8, v13 :: v_dual_sub_f32 v13, v3, v15
	v_fma_f32 v3, -0.5, v18, v1
	v_sub_f32_e32 v18, v9, v16
	v_dual_fmac_f32 v4, 0x3f737871, v7 :: v_dual_add_f32 v11, v11, v22
	v_dual_fmac_f32 v6, 0xbf167918, v19 :: v_dual_sub_f32 v15, v12, v14
	v_fmac_f32_e32 v0, 0xbf167918, v7
	v_dual_fmamk_f32 v1, v13, 0xbf737871, v3 :: v_dual_sub_f32 v12, v14, v12
	v_fmac_f32_e32 v2, 0x3f167918, v7
	v_fmamk_f32 v7, v17, 0x3f737871, v5
	v_fmac_f32_e32 v5, 0xbf737871, v17
	s_delay_alu instid0(VALU_DEP_4) | instskip(SKIP_1) | instid1(VALU_DEP_4)
	v_fmac_f32_e32 v1, 0x3f167918, v17
	v_dual_add_f32 v15, v15, v18 :: v_dual_fmac_f32 v4, 0x3f167918, v19
	v_fmac_f32_e32 v7, 0x3f167918, v13
	s_delay_alu instid0(VALU_DEP_4) | instskip(SKIP_1) | instid1(VALU_DEP_3)
	v_fmac_f32_e32 v5, 0xbf167918, v13
	v_sub_f32_e32 v14, v16, v9
	v_dual_fmac_f32 v4, 0x3e9e377a, v20 :: v_dual_fmac_f32 v7, 0x3e9e377a, v15
	s_delay_alu instid0(VALU_DEP_3) | instskip(NEXT) | instid1(VALU_DEP_3)
	v_fmac_f32_e32 v5, 0x3e9e377a, v15
	v_dual_fmac_f32 v3, 0x3f737871, v13 :: v_dual_add_f32 v12, v12, v14
	v_fmac_f32_e32 v0, 0x3e9e377a, v11
	s_delay_alu instid0(VALU_DEP_2) | instskip(NEXT) | instid1(VALU_DEP_3)
	v_fmac_f32_e32 v3, 0xbf167918, v17
	v_dual_fmac_f32 v1, 0x3e9e377a, v12 :: v_dual_fmac_f32 v2, 0x3e9e377a, v11
	v_add_f32_e32 v11, v23, v16
	v_fmac_f32_e32 v6, 0x3e9e377a, v20
	s_delay_alu instid0(VALU_DEP_4) | instskip(NEXT) | instid1(VALU_DEP_3)
	v_fmac_f32_e32 v3, 0x3e9e377a, v12
	v_add_f32_e32 v9, v11, v9
	ds_store_2addr_b64 v74, v[8:9], v[6:7] offset1:208
	ds_store_2addr_b64 v10, v[0:1], v[2:3] offset0:32 offset1:240
	ds_store_b64 v74, v[4:5] offset:6656
	global_wb scope:SCOPE_SE
	s_wait_dscnt 0x0
	s_barrier_signal -1
	s_barrier_wait -1
	global_inv scope:SCOPE_SE
	s_and_b32 exec_lo, exec_lo, vcc_lo
	s_cbranch_execz .LBB0_23
; %bb.22:
	s_clause 0xc
	global_load_b64 v[24:25], v74, s[12:13]
	global_load_b64 v[26:27], v74, s[12:13] offset:640
	global_load_b64 v[28:29], v74, s[12:13] offset:1280
	;; [unrolled: 1-line block ×12, first 2 shown]
	v_mad_co_u64_u32 v[4:5], null, s6, v70, 0
	v_mad_co_u64_u32 v[6:7], null, s4, v75, 0
	ds_load_b64 v[50:51], v74
	v_add_nc_u32_e32 v9, 0x800, v74
	v_add_nc_u32_e32 v12, 0x1000, v74
	s_mov_b32 s2, 0x1f81f820
	v_mov_b32_e32 v0, v5
	s_mov_b32 s3, 0x3f4f81f8
	v_mov_b32_e32 v1, v7
	s_mul_u64 s[0:1], s[4:5], 0x280
	s_delay_alu instid0(VALU_DEP_1) | instskip(NEXT) | instid1(VALU_DEP_1)
	v_mad_co_u64_u32 v[2:3], null, s7, v70, v[0:1]
	v_mad_co_u64_u32 v[7:8], null, s5, v75, v[1:2]
	v_dual_mov_b32 v5, v2 :: v_dual_add_nc_u32 v8, 0x400, v74
	ds_load_2addr_b64 v[0:3], v74 offset0:80 offset1:160
	v_add_nc_u32_e32 v20, 0x1800, v74
	v_add_nc_u32_e32 v16, 0x1400, v74
	v_lshlrev_b64_e32 v[4:5], 3, v[4:5]
	v_lshlrev_b64_e32 v[6:7], 3, v[6:7]
	s_delay_alu instid0(VALU_DEP_2) | instskip(NEXT) | instid1(VALU_DEP_3)
	v_add_co_u32 v72, vcc_lo, s8, v4
	v_add_co_ci_u32_e32 v76, vcc_lo, s9, v5, vcc_lo
	s_delay_alu instid0(VALU_DEP_2) | instskip(SKIP_1) | instid1(VALU_DEP_2)
	v_add_co_u32 v52, vcc_lo, v72, v6
	s_wait_alu 0xfffd
	v_add_co_ci_u32_e32 v53, vcc_lo, v76, v7, vcc_lo
	ds_load_2addr_b64 v[4:7], v8 offset0:112 offset1:192
	s_wait_alu 0xfffe
	v_add_co_u32 v54, vcc_lo, v52, s0
	s_wait_alu 0xfffd
	v_add_co_ci_u32_e32 v55, vcc_lo, s1, v53, vcc_lo
	s_delay_alu instid0(VALU_DEP_2) | instskip(SKIP_1) | instid1(VALU_DEP_2)
	v_add_co_u32 v56, vcc_lo, v54, s0
	s_wait_alu 0xfffd
	v_add_co_ci_u32_e32 v57, vcc_lo, s1, v55, vcc_lo
	s_delay_alu instid0(VALU_DEP_2) | instskip(SKIP_1) | instid1(VALU_DEP_2)
	;; [unrolled: 4-line block ×4, first 2 shown]
	v_add_co_u32 v62, vcc_lo, v60, s0
	s_wait_alu 0xfffd
	v_add_co_ci_u32_e32 v63, vcc_lo, s1, v61, vcc_lo
	s_wait_loadcnt_dscnt 0xb01
	v_dual_mul_f32 v64, v51, v25 :: v_dual_mul_f32 v65, v1, v27
	v_mul_f32_e32 v27, v0, v27
	ds_load_2addr_b64 v[20:23], v20 offset0:112 offset1:192
	ds_load_2addr_b64 v[8:11], v9 offset0:144 offset1:224
	v_mul_f32_e32 v25, v50, v25
	ds_load_2addr_b64 v[12:15], v12 offset0:48 offset1:128
	ds_load_2addr_b64 v[16:19], v16 offset0:80 offset1:160
	s_wait_loadcnt_dscnt 0x904
	v_dual_mul_f32 v66, v3, v29 :: v_dual_mul_f32 v67, v5, v31
	v_mul_f32_e32 v29, v2, v29
	s_wait_loadcnt 0x8
	v_dual_mul_f32 v31, v4, v31 :: v_dual_mul_f32 v68, v7, v33
	v_fmac_f32_e32 v65, v0, v26
	v_dual_fmac_f32 v67, v4, v30 :: v_dual_fmac_f32 v64, v50, v24
	v_fma_f32 v24, v24, v51, -v25
	v_fma_f32 v25, v26, v1, -v27
	v_fmac_f32_e32 v66, v2, v28
	v_fma_f32 v27, v30, v5, -v31
	v_cvt_f64_f32_e32 v[4:5], v65
	v_fmac_f32_e32 v68, v6, v32
	v_cvt_f64_f32_e32 v[0:1], v64
	s_wait_loadcnt_dscnt 0x103
	v_dual_mul_f32 v78, v21, v47 :: v_dual_mul_f32 v33, v6, v33
	s_wait_dscnt 0x2
	v_dual_mul_f32 v69, v9, v35 :: v_dual_mul_f32 v70, v11, v37
	s_wait_dscnt 0x1
	v_dual_mul_f32 v35, v8, v35 :: v_dual_mul_f32 v74, v15, v41
	v_mul_f32_e32 v71, v13, v39
	v_mul_f32_e32 v37, v10, v37
	;; [unrolled: 1-line block ×3, first 2 shown]
	v_fma_f32 v26, v28, v3, -v29
	v_mul_f32_e32 v41, v14, v41
	s_wait_dscnt 0x0
	v_mul_f32_e32 v75, v17, v43
	v_dual_mul_f32 v43, v16, v43 :: v_dual_fmac_f32 v70, v10, v36
	v_dual_mul_f32 v77, v19, v45 :: v_dual_fmac_f32 v74, v14, v40
	;; [unrolled: 1-line block ×3, first 2 shown]
	v_fma_f32 v28, v32, v7, -v33
	v_mul_f32_e32 v47, v20, v47
	s_wait_loadcnt 0x0
	v_mul_f32_e32 v79, v23, v49
	v_mul_f32_e32 v49, v22, v49
	v_fmac_f32_e32 v69, v8, v34
	v_fma_f32 v29, v34, v9, -v35
	v_cvt_f64_f32_e32 v[2:3], v24
	v_fma_f32 v30, v36, v11, -v37
	v_cvt_f64_f32_e32 v[6:7], v25
	v_fmac_f32_e32 v71, v12, v38
	v_fma_f32 v31, v38, v13, -v39
	v_cvt_f64_f32_e32 v[8:9], v66
	v_cvt_f64_f32_e32 v[10:11], v26
	v_fma_f32 v34, v40, v15, -v41
	v_cvt_f64_f32_e32 v[12:13], v67
	v_cvt_f64_f32_e32 v[14:15], v27
	v_fmac_f32_e32 v75, v16, v42
	v_fma_f32 v38, v42, v17, -v43
	v_fmac_f32_e32 v77, v18, v44
	v_fma_f32 v42, v44, v19, -v45
	v_cvt_f64_f32_e32 v[16:17], v68
	v_cvt_f64_f32_e32 v[18:19], v28
	v_fma_f32 v46, v46, v21, -v47
	v_fmac_f32_e32 v79, v22, v48
	v_fma_f32 v50, v48, v23, -v49
	v_cvt_f64_f32_e32 v[20:21], v69
	v_cvt_f64_f32_e32 v[22:23], v29
	;; [unrolled: 1-line block ×16, first 2 shown]
	v_mul_f64_e32 v[0:1], s[2:3], v[0:1]
	v_mul_f64_e32 v[4:5], s[2:3], v[4:5]
	v_add_co_u32 v64, vcc_lo, v62, s0
	v_mul_f64_e32 v[2:3], s[2:3], v[2:3]
	v_mul_f64_e32 v[6:7], s[2:3], v[6:7]
	s_wait_alu 0xfffd
	v_add_co_ci_u32_e32 v65, vcc_lo, s1, v63, vcc_lo
	v_mul_f64_e32 v[8:9], s[2:3], v[8:9]
	v_mul_f64_e32 v[10:11], s[2:3], v[10:11]
	v_add_co_u32 v66, vcc_lo, v64, s0
	v_mul_f64_e32 v[12:13], s[2:3], v[12:13]
	v_mul_f64_e32 v[14:15], s[2:3], v[14:15]
	s_wait_alu 0xfffd
	v_add_co_ci_u32_e32 v67, vcc_lo, s1, v65, vcc_lo
	v_mad_co_u64_u32 v[70:71], null, s4, v73, 0
	v_mul_f64_e32 v[16:17], s[2:3], v[16:17]
	v_mul_f64_e32 v[18:19], s[2:3], v[18:19]
	s_delay_alu instid0(VALU_DEP_4)
	v_mad_co_u64_u32 v[68:69], null, 0x500, s4, v[66:67]
	v_mul_f64_e32 v[20:21], s[2:3], v[20:21]
	v_mul_f64_e32 v[22:23], s[2:3], v[22:23]
	;; [unrolled: 1-line block ×16, first 2 shown]
	v_cvt_f32_f64_e32 v0, v[0:1]
	v_mad_co_u64_u32 v[74:75], null, 0x500, s5, v[69:70]
	v_cvt_f32_f64_e32 v1, v[2:3]
	v_cvt_f32_f64_e32 v2, v[4:5]
	;; [unrolled: 1-line block ×5, first 2 shown]
	v_mov_b32_e32 v69, v74
	v_cvt_f32_f64_e32 v6, v[12:13]
	v_cvt_f32_f64_e32 v7, v[14:15]
	;; [unrolled: 1-line block ×20, first 2 shown]
	v_mad_co_u64_u32 v[26:27], null, s5, v73, v[71:72]
	s_delay_alu instid0(VALU_DEP_1) | instskip(SKIP_3) | instid1(VALU_DEP_3)
	v_mov_b32_e32 v71, v26
	v_add_co_u32 v26, vcc_lo, v68, s0
	s_wait_alu 0xfffd
	v_add_co_ci_u32_e32 v27, vcc_lo, s1, v69, vcc_lo
	v_lshlrev_b64_e32 v[28:29], 3, v[70:71]
	s_delay_alu instid0(VALU_DEP_3) | instskip(SKIP_1) | instid1(VALU_DEP_3)
	v_add_co_u32 v30, vcc_lo, v26, s0
	s_wait_alu 0xfffd
	v_add_co_ci_u32_e32 v31, vcc_lo, s1, v27, vcc_lo
	s_delay_alu instid0(VALU_DEP_3)
	v_add_co_u32 v28, vcc_lo, v72, v28
	s_wait_alu 0xfffd
	v_add_co_ci_u32_e32 v29, vcc_lo, v76, v29, vcc_lo
	v_add_co_u32 v32, vcc_lo, v30, s0
	s_wait_alu 0xfffd
	v_add_co_ci_u32_e32 v33, vcc_lo, s1, v31, vcc_lo
	s_clause 0x4
	global_store_b64 v[52:53], v[0:1], off
	global_store_b64 v[54:55], v[2:3], off
	;; [unrolled: 1-line block ×13, first 2 shown]
.LBB0_23:
	s_nop 0
	s_sendmsg sendmsg(MSG_DEALLOC_VGPRS)
	s_endpgm
	.section	.rodata,"a",@progbits
	.p2align	6, 0x0
	.amdhsa_kernel bluestein_single_fwd_len1040_dim1_sp_op_CI_CI
		.amdhsa_group_segment_fixed_size 8320
		.amdhsa_private_segment_fixed_size 0
		.amdhsa_kernarg_size 104
		.amdhsa_user_sgpr_count 2
		.amdhsa_user_sgpr_dispatch_ptr 0
		.amdhsa_user_sgpr_queue_ptr 0
		.amdhsa_user_sgpr_kernarg_segment_ptr 1
		.amdhsa_user_sgpr_dispatch_id 0
		.amdhsa_user_sgpr_private_segment_size 0
		.amdhsa_wavefront_size32 1
		.amdhsa_uses_dynamic_stack 0
		.amdhsa_enable_private_segment 0
		.amdhsa_system_sgpr_workgroup_id_x 1
		.amdhsa_system_sgpr_workgroup_id_y 0
		.amdhsa_system_sgpr_workgroup_id_z 0
		.amdhsa_system_sgpr_workgroup_info 0
		.amdhsa_system_vgpr_workitem_id 0
		.amdhsa_next_free_vgpr 143
		.amdhsa_next_free_sgpr 14
		.amdhsa_reserve_vcc 1
		.amdhsa_float_round_mode_32 0
		.amdhsa_float_round_mode_16_64 0
		.amdhsa_float_denorm_mode_32 3
		.amdhsa_float_denorm_mode_16_64 3
		.amdhsa_fp16_overflow 0
		.amdhsa_workgroup_processor_mode 1
		.amdhsa_memory_ordered 1
		.amdhsa_forward_progress 0
		.amdhsa_round_robin_scheduling 0
		.amdhsa_exception_fp_ieee_invalid_op 0
		.amdhsa_exception_fp_denorm_src 0
		.amdhsa_exception_fp_ieee_div_zero 0
		.amdhsa_exception_fp_ieee_overflow 0
		.amdhsa_exception_fp_ieee_underflow 0
		.amdhsa_exception_fp_ieee_inexact 0
		.amdhsa_exception_int_div_zero 0
	.end_amdhsa_kernel
	.text
.Lfunc_end0:
	.size	bluestein_single_fwd_len1040_dim1_sp_op_CI_CI, .Lfunc_end0-bluestein_single_fwd_len1040_dim1_sp_op_CI_CI
                                        ; -- End function
	.section	.AMDGPU.csdata,"",@progbits
; Kernel info:
; codeLenInByte = 14660
; NumSgprs: 16
; NumVgprs: 143
; ScratchSize: 0
; MemoryBound: 0
; FloatMode: 240
; IeeeMode: 1
; LDSByteSize: 8320 bytes/workgroup (compile time only)
; SGPRBlocks: 1
; VGPRBlocks: 17
; NumSGPRsForWavesPerEU: 16
; NumVGPRsForWavesPerEU: 143
; Occupancy: 10
; WaveLimiterHint : 1
; COMPUTE_PGM_RSRC2:SCRATCH_EN: 0
; COMPUTE_PGM_RSRC2:USER_SGPR: 2
; COMPUTE_PGM_RSRC2:TRAP_HANDLER: 0
; COMPUTE_PGM_RSRC2:TGID_X_EN: 1
; COMPUTE_PGM_RSRC2:TGID_Y_EN: 0
; COMPUTE_PGM_RSRC2:TGID_Z_EN: 0
; COMPUTE_PGM_RSRC2:TIDIG_COMP_CNT: 0
	.text
	.p2alignl 7, 3214868480
	.fill 96, 4, 3214868480
	.type	__hip_cuid_adef0be5d7fbbfdf,@object ; @__hip_cuid_adef0be5d7fbbfdf
	.section	.bss,"aw",@nobits
	.globl	__hip_cuid_adef0be5d7fbbfdf
__hip_cuid_adef0be5d7fbbfdf:
	.byte	0                               ; 0x0
	.size	__hip_cuid_adef0be5d7fbbfdf, 1

	.ident	"AMD clang version 19.0.0git (https://github.com/RadeonOpenCompute/llvm-project roc-6.4.0 25133 c7fe45cf4b819c5991fe208aaa96edf142730f1d)"
	.section	".note.GNU-stack","",@progbits
	.addrsig
	.addrsig_sym __hip_cuid_adef0be5d7fbbfdf
	.amdgpu_metadata
---
amdhsa.kernels:
  - .args:
      - .actual_access:  read_only
        .address_space:  global
        .offset:         0
        .size:           8
        .value_kind:     global_buffer
      - .actual_access:  read_only
        .address_space:  global
        .offset:         8
        .size:           8
        .value_kind:     global_buffer
      - .actual_access:  read_only
        .address_space:  global
        .offset:         16
        .size:           8
        .value_kind:     global_buffer
      - .actual_access:  read_only
        .address_space:  global
        .offset:         24
        .size:           8
        .value_kind:     global_buffer
      - .actual_access:  read_only
        .address_space:  global
        .offset:         32
        .size:           8
        .value_kind:     global_buffer
      - .offset:         40
        .size:           8
        .value_kind:     by_value
      - .address_space:  global
        .offset:         48
        .size:           8
        .value_kind:     global_buffer
      - .address_space:  global
        .offset:         56
        .size:           8
        .value_kind:     global_buffer
      - .address_space:  global
        .offset:         64
        .size:           8
        .value_kind:     global_buffer
      - .address_space:  global
        .offset:         72
        .size:           8
        .value_kind:     global_buffer
      - .offset:         80
        .size:           4
        .value_kind:     by_value
      - .address_space:  global
        .offset:         88
        .size:           8
        .value_kind:     global_buffer
      - .address_space:  global
        .offset:         96
        .size:           8
        .value_kind:     global_buffer
    .group_segment_fixed_size: 8320
    .kernarg_segment_align: 8
    .kernarg_segment_size: 104
    .language:       OpenCL C
    .language_version:
      - 2
      - 0
    .max_flat_workgroup_size: 208
    .name:           bluestein_single_fwd_len1040_dim1_sp_op_CI_CI
    .private_segment_fixed_size: 0
    .sgpr_count:     16
    .sgpr_spill_count: 0
    .symbol:         bluestein_single_fwd_len1040_dim1_sp_op_CI_CI.kd
    .uniform_work_group_size: 1
    .uses_dynamic_stack: false
    .vgpr_count:     143
    .vgpr_spill_count: 0
    .wavefront_size: 32
    .workgroup_processor_mode: 1
amdhsa.target:   amdgcn-amd-amdhsa--gfx1201
amdhsa.version:
  - 1
  - 2
...

	.end_amdgpu_metadata
